;; amdgpu-corpus repo=ROCm/rocFFT kind=compiled arch=gfx1201 opt=O3
	.text
	.amdgcn_target "amdgcn-amd-amdhsa--gfx1201"
	.amdhsa_code_object_version 6
	.protected	fft_rtc_fwd_len952_factors_17_4_2_7_wgs_204_tpt_68_halfLds_sp_op_CI_CI_unitstride_sbrr_C2R_dirReg ; -- Begin function fft_rtc_fwd_len952_factors_17_4_2_7_wgs_204_tpt_68_halfLds_sp_op_CI_CI_unitstride_sbrr_C2R_dirReg
	.globl	fft_rtc_fwd_len952_factors_17_4_2_7_wgs_204_tpt_68_halfLds_sp_op_CI_CI_unitstride_sbrr_C2R_dirReg
	.p2align	8
	.type	fft_rtc_fwd_len952_factors_17_4_2_7_wgs_204_tpt_68_halfLds_sp_op_CI_CI_unitstride_sbrr_C2R_dirReg,@function
fft_rtc_fwd_len952_factors_17_4_2_7_wgs_204_tpt_68_halfLds_sp_op_CI_CI_unitstride_sbrr_C2R_dirReg: ; @fft_rtc_fwd_len952_factors_17_4_2_7_wgs_204_tpt_68_halfLds_sp_op_CI_CI_unitstride_sbrr_C2R_dirReg
; %bb.0:
	s_load_b128 s[8:11], s[0:1], 0x0
	v_mul_u32_u24_e32 v1, 0x3c4, v0
	s_clause 0x1
	s_load_b128 s[4:7], s[0:1], 0x58
	s_load_b128 s[12:15], s[0:1], 0x18
	v_mov_b32_e32 v5, 0
	v_lshrrev_b32_e32 v3, 16, v1
	v_mov_b32_e32 v1, 0
	v_mov_b32_e32 v2, 0
	s_delay_alu instid0(VALU_DEP_3) | instskip(NEXT) | instid1(VALU_DEP_2)
	v_mad_co_u64_u32 v[3:4], null, ttmp9, 3, v[3:4]
	v_dual_mov_b32 v4, v5 :: v_dual_mov_b32 v41, v2
	s_delay_alu instid0(VALU_DEP_1) | instskip(NEXT) | instid1(VALU_DEP_3)
	v_dual_mov_b32 v40, v1 :: v_dual_mov_b32 v45, v4
	v_mov_b32_e32 v44, v3
	s_wait_kmcnt 0x0
	v_cmp_lt_u64_e64 s2, s[10:11], 2
	s_delay_alu instid0(VALU_DEP_1)
	s_and_b32 vcc_lo, exec_lo, s2
	s_cbranch_vccnz .LBB0_8
; %bb.1:
	s_load_b64 s[2:3], s[0:1], 0x10
	v_dual_mov_b32 v1, 0 :: v_dual_mov_b32 v8, v4
	v_dual_mov_b32 v2, 0 :: v_dual_mov_b32 v7, v3
	s_add_nc_u64 s[16:17], s[14:15], 8
	s_add_nc_u64 s[18:19], s[12:13], 8
	s_mov_b64 s[20:21], 1
	s_delay_alu instid0(VALU_DEP_1)
	v_dual_mov_b32 v41, v2 :: v_dual_mov_b32 v40, v1
	s_wait_kmcnt 0x0
	s_add_nc_u64 s[22:23], s[2:3], 8
	s_mov_b32 s3, 0
.LBB0_2:                                ; =>This Inner Loop Header: Depth=1
	s_load_b64 s[24:25], s[22:23], 0x0
                                        ; implicit-def: $vgpr44_vgpr45
	s_mov_b32 s2, exec_lo
	s_wait_kmcnt 0x0
	v_or_b32_e32 v6, s25, v8
	s_delay_alu instid0(VALU_DEP_1)
	v_cmpx_ne_u64_e32 0, v[5:6]
	s_wait_alu 0xfffe
	s_xor_b32 s26, exec_lo, s2
	s_cbranch_execz .LBB0_4
; %bb.3:                                ;   in Loop: Header=BB0_2 Depth=1
	s_cvt_f32_u32 s2, s24
	s_cvt_f32_u32 s27, s25
	s_sub_nc_u64 s[30:31], 0, s[24:25]
	s_wait_alu 0xfffe
	s_delay_alu instid0(SALU_CYCLE_1) | instskip(SKIP_1) | instid1(SALU_CYCLE_2)
	s_fmamk_f32 s2, s27, 0x4f800000, s2
	s_wait_alu 0xfffe
	v_s_rcp_f32 s2, s2
	s_delay_alu instid0(TRANS32_DEP_1) | instskip(SKIP_1) | instid1(SALU_CYCLE_2)
	s_mul_f32 s2, s2, 0x5f7ffffc
	s_wait_alu 0xfffe
	s_mul_f32 s27, s2, 0x2f800000
	s_wait_alu 0xfffe
	s_delay_alu instid0(SALU_CYCLE_2) | instskip(SKIP_1) | instid1(SALU_CYCLE_2)
	s_trunc_f32 s27, s27
	s_wait_alu 0xfffe
	s_fmamk_f32 s2, s27, 0xcf800000, s2
	s_cvt_u32_f32 s29, s27
	s_wait_alu 0xfffe
	s_delay_alu instid0(SALU_CYCLE_1) | instskip(SKIP_1) | instid1(SALU_CYCLE_2)
	s_cvt_u32_f32 s28, s2
	s_wait_alu 0xfffe
	s_mul_u64 s[34:35], s[30:31], s[28:29]
	s_wait_alu 0xfffe
	s_mul_hi_u32 s37, s28, s35
	s_mul_i32 s36, s28, s35
	s_mul_hi_u32 s2, s28, s34
	s_mul_i32 s33, s29, s34
	s_wait_alu 0xfffe
	s_add_nc_u64 s[36:37], s[2:3], s[36:37]
	s_mul_hi_u32 s27, s29, s34
	s_mul_hi_u32 s38, s29, s35
	s_add_co_u32 s2, s36, s33
	s_wait_alu 0xfffe
	s_add_co_ci_u32 s2, s37, s27
	s_mul_i32 s34, s29, s35
	s_add_co_ci_u32 s35, s38, 0
	s_wait_alu 0xfffe
	s_add_nc_u64 s[34:35], s[2:3], s[34:35]
	s_wait_alu 0xfffe
	v_add_co_u32 v4, s2, s28, s34
	s_delay_alu instid0(VALU_DEP_1) | instskip(SKIP_1) | instid1(VALU_DEP_1)
	s_cmp_lg_u32 s2, 0
	s_add_co_ci_u32 s29, s29, s35
	v_readfirstlane_b32 s28, v4
	s_wait_alu 0xfffe
	s_delay_alu instid0(VALU_DEP_1)
	s_mul_u64 s[30:31], s[30:31], s[28:29]
	s_wait_alu 0xfffe
	s_mul_hi_u32 s35, s28, s31
	s_mul_i32 s34, s28, s31
	s_mul_hi_u32 s2, s28, s30
	s_mul_i32 s33, s29, s30
	s_wait_alu 0xfffe
	s_add_nc_u64 s[34:35], s[2:3], s[34:35]
	s_mul_hi_u32 s27, s29, s30
	s_mul_hi_u32 s28, s29, s31
	s_wait_alu 0xfffe
	s_add_co_u32 s2, s34, s33
	s_add_co_ci_u32 s2, s35, s27
	s_mul_i32 s30, s29, s31
	s_add_co_ci_u32 s31, s28, 0
	s_wait_alu 0xfffe
	s_add_nc_u64 s[30:31], s[2:3], s[30:31]
	s_wait_alu 0xfffe
	v_add_co_u32 v4, s2, v4, s30
	s_delay_alu instid0(VALU_DEP_1) | instskip(SKIP_1) | instid1(VALU_DEP_1)
	s_cmp_lg_u32 s2, 0
	s_add_co_ci_u32 s2, s29, s31
	v_mul_hi_u32 v6, v7, v4
	s_wait_alu 0xfffe
	v_mad_co_u64_u32 v[9:10], null, v7, s2, 0
	v_mad_co_u64_u32 v[11:12], null, v8, v4, 0
	;; [unrolled: 1-line block ×3, first 2 shown]
	s_delay_alu instid0(VALU_DEP_3) | instskip(SKIP_1) | instid1(VALU_DEP_4)
	v_add_co_u32 v4, vcc_lo, v6, v9
	s_wait_alu 0xfffd
	v_add_co_ci_u32_e32 v6, vcc_lo, 0, v10, vcc_lo
	s_delay_alu instid0(VALU_DEP_2) | instskip(SKIP_1) | instid1(VALU_DEP_2)
	v_add_co_u32 v4, vcc_lo, v4, v11
	s_wait_alu 0xfffd
	v_add_co_ci_u32_e32 v4, vcc_lo, v6, v12, vcc_lo
	s_wait_alu 0xfffd
	v_add_co_ci_u32_e32 v6, vcc_lo, 0, v14, vcc_lo
	s_delay_alu instid0(VALU_DEP_2) | instskip(SKIP_1) | instid1(VALU_DEP_2)
	v_add_co_u32 v4, vcc_lo, v4, v13
	s_wait_alu 0xfffd
	v_add_co_ci_u32_e32 v6, vcc_lo, 0, v6, vcc_lo
	s_delay_alu instid0(VALU_DEP_2) | instskip(SKIP_1) | instid1(VALU_DEP_3)
	v_mul_lo_u32 v11, s25, v4
	v_mad_co_u64_u32 v[9:10], null, s24, v4, 0
	v_mul_lo_u32 v12, s24, v6
	s_delay_alu instid0(VALU_DEP_2) | instskip(NEXT) | instid1(VALU_DEP_2)
	v_sub_co_u32 v9, vcc_lo, v7, v9
	v_add3_u32 v10, v10, v12, v11
	s_delay_alu instid0(VALU_DEP_1) | instskip(SKIP_1) | instid1(VALU_DEP_1)
	v_sub_nc_u32_e32 v11, v8, v10
	s_wait_alu 0xfffd
	v_subrev_co_ci_u32_e64 v11, s2, s25, v11, vcc_lo
	v_add_co_u32 v12, s2, v4, 2
	s_wait_alu 0xf1ff
	v_add_co_ci_u32_e64 v13, s2, 0, v6, s2
	v_sub_co_u32 v14, s2, v9, s24
	v_sub_co_ci_u32_e32 v10, vcc_lo, v8, v10, vcc_lo
	s_wait_alu 0xf1ff
	v_subrev_co_ci_u32_e64 v11, s2, 0, v11, s2
	s_delay_alu instid0(VALU_DEP_3) | instskip(NEXT) | instid1(VALU_DEP_3)
	v_cmp_le_u32_e32 vcc_lo, s24, v14
	v_cmp_eq_u32_e64 s2, s25, v10
	s_wait_alu 0xfffd
	v_cndmask_b32_e64 v14, 0, -1, vcc_lo
	v_cmp_le_u32_e32 vcc_lo, s25, v11
	s_wait_alu 0xfffd
	v_cndmask_b32_e64 v15, 0, -1, vcc_lo
	v_cmp_le_u32_e32 vcc_lo, s24, v9
	;; [unrolled: 3-line block ×3, first 2 shown]
	s_wait_alu 0xfffd
	v_cndmask_b32_e64 v16, 0, -1, vcc_lo
	v_cmp_eq_u32_e32 vcc_lo, s25, v11
	s_wait_alu 0xf1ff
	s_delay_alu instid0(VALU_DEP_2)
	v_cndmask_b32_e64 v9, v16, v9, s2
	s_wait_alu 0xfffd
	v_cndmask_b32_e32 v11, v15, v14, vcc_lo
	v_add_co_u32 v14, vcc_lo, v4, 1
	s_wait_alu 0xfffd
	v_add_co_ci_u32_e32 v15, vcc_lo, 0, v6, vcc_lo
	s_delay_alu instid0(VALU_DEP_3) | instskip(SKIP_1) | instid1(VALU_DEP_2)
	v_cmp_ne_u32_e32 vcc_lo, 0, v11
	s_wait_alu 0xfffd
	v_dual_cndmask_b32 v10, v15, v13 :: v_dual_cndmask_b32 v11, v14, v12
	v_cmp_ne_u32_e32 vcc_lo, 0, v9
	s_wait_alu 0xfffd
	s_delay_alu instid0(VALU_DEP_2)
	v_dual_cndmask_b32 v45, v6, v10 :: v_dual_cndmask_b32 v44, v4, v11
.LBB0_4:                                ;   in Loop: Header=BB0_2 Depth=1
	s_wait_alu 0xfffe
	s_and_not1_saveexec_b32 s2, s26
	s_cbranch_execz .LBB0_6
; %bb.5:                                ;   in Loop: Header=BB0_2 Depth=1
	v_cvt_f32_u32_e32 v4, s24
	s_sub_co_i32 s26, 0, s24
	v_mov_b32_e32 v45, v5
	s_delay_alu instid0(VALU_DEP_2) | instskip(NEXT) | instid1(TRANS32_DEP_1)
	v_rcp_iflag_f32_e32 v4, v4
	v_mul_f32_e32 v4, 0x4f7ffffe, v4
	s_delay_alu instid0(VALU_DEP_1) | instskip(SKIP_1) | instid1(VALU_DEP_1)
	v_cvt_u32_f32_e32 v4, v4
	s_wait_alu 0xfffe
	v_mul_lo_u32 v6, s26, v4
	s_delay_alu instid0(VALU_DEP_1) | instskip(NEXT) | instid1(VALU_DEP_1)
	v_mul_hi_u32 v6, v4, v6
	v_add_nc_u32_e32 v4, v4, v6
	s_delay_alu instid0(VALU_DEP_1) | instskip(NEXT) | instid1(VALU_DEP_1)
	v_mul_hi_u32 v4, v7, v4
	v_mul_lo_u32 v6, v4, s24
	s_delay_alu instid0(VALU_DEP_1) | instskip(NEXT) | instid1(VALU_DEP_1)
	v_sub_nc_u32_e32 v6, v7, v6
	v_subrev_nc_u32_e32 v10, s24, v6
	v_cmp_le_u32_e32 vcc_lo, s24, v6
	s_wait_alu 0xfffd
	s_delay_alu instid0(VALU_DEP_2) | instskip(NEXT) | instid1(VALU_DEP_1)
	v_dual_cndmask_b32 v6, v6, v10 :: v_dual_add_nc_u32 v9, 1, v4
	v_cndmask_b32_e32 v4, v4, v9, vcc_lo
	s_delay_alu instid0(VALU_DEP_2) | instskip(NEXT) | instid1(VALU_DEP_2)
	v_cmp_le_u32_e32 vcc_lo, s24, v6
	v_add_nc_u32_e32 v9, 1, v4
	s_wait_alu 0xfffd
	s_delay_alu instid0(VALU_DEP_1)
	v_cndmask_b32_e32 v44, v4, v9, vcc_lo
.LBB0_6:                                ;   in Loop: Header=BB0_2 Depth=1
	s_wait_alu 0xfffe
	s_or_b32 exec_lo, exec_lo, s2
	v_mul_lo_u32 v4, v45, s24
	s_delay_alu instid0(VALU_DEP_2)
	v_mul_lo_u32 v6, v44, s25
	s_load_b64 s[26:27], s[18:19], 0x0
	v_mad_co_u64_u32 v[9:10], null, v44, s24, 0
	s_load_b64 s[24:25], s[16:17], 0x0
	s_add_nc_u64 s[20:21], s[20:21], 1
	s_add_nc_u64 s[16:17], s[16:17], 8
	s_wait_alu 0xfffe
	v_cmp_ge_u64_e64 s2, s[20:21], s[10:11]
	s_add_nc_u64 s[18:19], s[18:19], 8
	s_add_nc_u64 s[22:23], s[22:23], 8
	v_add3_u32 v4, v10, v6, v4
	v_sub_co_u32 v6, vcc_lo, v7, v9
	s_wait_alu 0xfffd
	s_delay_alu instid0(VALU_DEP_2) | instskip(SKIP_2) | instid1(VALU_DEP_1)
	v_sub_co_ci_u32_e32 v4, vcc_lo, v8, v4, vcc_lo
	s_and_b32 vcc_lo, exec_lo, s2
	s_wait_kmcnt 0x0
	v_mul_lo_u32 v7, s26, v4
	v_mul_lo_u32 v8, s27, v6
	v_mad_co_u64_u32 v[1:2], null, s26, v6, v[1:2]
	v_mul_lo_u32 v4, s24, v4
	v_mul_lo_u32 v9, s25, v6
	v_mad_co_u64_u32 v[40:41], null, s24, v6, v[40:41]
	s_delay_alu instid0(VALU_DEP_4) | instskip(NEXT) | instid1(VALU_DEP_2)
	v_add3_u32 v2, v8, v2, v7
	v_add3_u32 v41, v9, v41, v4
	s_wait_alu 0xfffe
	s_cbranch_vccnz .LBB0_8
; %bb.7:                                ;   in Loop: Header=BB0_2 Depth=1
	v_dual_mov_b32 v7, v44 :: v_dual_mov_b32 v8, v45
	s_branch .LBB0_2
.LBB0_8:
	s_load_b64 s[0:1], s[0:1], 0x28
	v_mul_hi_u32 v4, 0xaaaaaaab, v3
	v_mul_hi_u32 v6, 0x3c3c3c4, v0
	s_lshl_b64 s[10:11], s[10:11], 3
                                        ; implicit-def: $vgpr42
	s_wait_alu 0xfffe
	s_add_nc_u64 s[2:3], s[14:15], s[10:11]
	s_delay_alu instid0(VALU_DEP_2) | instskip(NEXT) | instid1(VALU_DEP_1)
	v_lshrrev_b32_e32 v4, 1, v4
	v_lshl_add_u32 v4, v4, 1, v4
	s_delay_alu instid0(VALU_DEP_1) | instskip(SKIP_3) | instid1(VALU_DEP_1)
	v_sub_nc_u32_e32 v5, v3, v4
	s_wait_kmcnt 0x0
	v_cmp_gt_u64_e32 vcc_lo, s[0:1], v[44:45]
	v_cmp_le_u64_e64 s0, s[0:1], v[44:45]
                                        ; implicit-def: $vgpr3_vgpr4
	s_and_saveexec_b32 s1, s0
	s_wait_alu 0xfffe
	s_xor_b32 s0, exec_lo, s1
; %bb.9:
	v_mul_u32_u24_e32 v1, 0x44, v6
	v_mov_b32_e32 v43, 0
                                        ; implicit-def: $vgpr6
	s_delay_alu instid0(VALU_DEP_2) | instskip(NEXT) | instid1(VALU_DEP_1)
	v_sub_nc_u32_e32 v42, v0, v1
                                        ; implicit-def: $vgpr0
                                        ; implicit-def: $vgpr1_vgpr2
	v_dual_mov_b32 v3, v42 :: v_dual_mov_b32 v4, v43
; %bb.10:
	s_wait_alu 0xfffe
	s_or_saveexec_b32 s1, s0
	s_load_b64 s[2:3], s[2:3], 0x0
	v_mul_u32_u24_e32 v5, 0x3b9, v5
	s_delay_alu instid0(VALU_DEP_1)
	v_lshlrev_b32_e32 v62, 3, v5
	s_xor_b32 exec_lo, exec_lo, s1
	s_cbranch_execz .LBB0_14
; %bb.11:
	s_add_nc_u64 s[10:11], s[12:13], s[10:11]
	v_mul_u32_u24_e32 v6, 0x44, v6
	s_load_b64 s[10:11], s[10:11], 0x0
	v_lshlrev_b64_e32 v[1:2], 3, v[1:2]
	v_mov_b32_e32 v43, 0
	s_delay_alu instid0(VALU_DEP_3) | instskip(SKIP_4) | instid1(VALU_DEP_1)
	v_sub_nc_u32_e32 v42, v0, v6
	s_wait_kmcnt 0x0
	v_mul_lo_u32 v7, s11, v44
	v_mul_lo_u32 v8, s10, v45
	v_mad_co_u64_u32 v[3:4], null, s10, v44, 0
	v_add3_u32 v4, v4, v8, v7
	s_delay_alu instid0(VALU_DEP_1) | instskip(NEXT) | instid1(VALU_DEP_1)
	v_lshlrev_b64_e32 v[3:4], 3, v[3:4]
	v_add_co_u32 v0, s0, s4, v3
	s_wait_alu 0xf1ff
	s_delay_alu instid0(VALU_DEP_2) | instskip(SKIP_1) | instid1(VALU_DEP_3)
	v_add_co_ci_u32_e64 v3, s0, s5, v4, s0
	v_lshlrev_b32_e32 v4, 3, v42
	v_add_co_u32 v0, s0, v0, v1
	s_wait_alu 0xf1ff
	s_delay_alu instid0(VALU_DEP_3) | instskip(SKIP_1) | instid1(VALU_DEP_2)
	v_add_co_ci_u32_e64 v1, s0, v3, v2, s0
	s_mov_b32 s4, exec_lo
	v_add_co_u32 v2, s0, v0, v4
	s_wait_alu 0xf1ff
	s_delay_alu instid0(VALU_DEP_2)
	v_add_co_ci_u32_e64 v3, s0, 0, v1, s0
	s_clause 0xd
	global_load_b64 v[6:7], v[2:3], off
	global_load_b64 v[8:9], v[2:3], off offset:544
	global_load_b64 v[10:11], v[2:3], off offset:1088
	;; [unrolled: 1-line block ×13, first 2 shown]
	v_add3_u32 v2, 0, v62, v4
	v_dual_mov_b32 v3, v42 :: v_dual_mov_b32 v4, v43
	s_delay_alu instid0(VALU_DEP_2)
	v_add_nc_u32_e32 v34, 0x800, v2
	v_add_nc_u32_e32 v35, 0x1000, v2
	;; [unrolled: 1-line block ×3, first 2 shown]
	s_wait_loadcnt 0xc
	ds_store_2addr_b64 v2, v[6:7], v[8:9] offset1:68
	s_wait_loadcnt 0xa
	ds_store_2addr_b64 v2, v[10:11], v[12:13] offset0:136 offset1:204
	s_wait_loadcnt 0x8
	ds_store_2addr_b64 v34, v[14:15], v[16:17] offset0:16 offset1:84
	;; [unrolled: 2-line block ×6, first 2 shown]
	v_cmpx_eq_u32_e32 0x43, v42
	s_cbranch_execz .LBB0_13
; %bb.12:
	global_load_b64 v[0:1], v[0:1], off offset:7616
	v_dual_mov_b32 v3, 0x43 :: v_dual_mov_b32 v42, 0x43
	v_mov_b32_e32 v4, 0
	s_wait_loadcnt 0x0
	ds_store_b64 v2, v[0:1] offset:7080
.LBB0_13:
	s_wait_alu 0xfffe
	s_or_b32 exec_lo, exec_lo, s4
.LBB0_14:
	s_delay_alu instid0(SALU_CYCLE_1)
	s_or_b32 exec_lo, exec_lo, s1
	v_lshl_add_u32 v60, v5, 3, 0
	v_lshlrev_b32_e32 v0, 3, v42
	global_wb scope:SCOPE_SE
	s_wait_dscnt 0x0
	s_wait_kmcnt 0x0
	s_barrier_signal -1
	s_barrier_wait -1
	global_inv scope:SCOPE_SE
	v_add_nc_u32_e32 v61, v60, v0
	v_sub_nc_u32_e32 v2, v60, v0
	v_lshlrev_b64_e32 v[46:47], 3, v[3:4]
	s_mov_b32 s1, exec_lo
	ds_load_b32 v6, v61
	ds_load_b32 v7, v2 offset:7616
	s_wait_dscnt 0x0
	v_dual_add_f32 v0, v7, v6 :: v_dual_sub_f32 v1, v6, v7
	v_cmpx_ne_u32_e32 0, v42
	s_wait_alu 0xfffe
	s_xor_b32 s1, exec_lo, s1
	s_cbranch_execz .LBB0_16
; %bb.15:
	v_add_co_u32 v0, s0, s8, v46
	s_wait_alu 0xf1ff
	v_add_co_ci_u32_e64 v1, s0, s9, v47, s0
	v_dual_add_f32 v8, v7, v6 :: v_dual_sub_f32 v9, v6, v7
	global_load_b64 v[3:4], v[0:1], off offset:7480
	ds_load_b32 v0, v2 offset:7620
	ds_load_b32 v1, v61 offset:4
	s_wait_dscnt 0x0
	v_add_f32_e32 v10, v0, v1
	v_sub_f32_e32 v0, v1, v0
	s_wait_loadcnt 0x0
	v_fma_f32 v6, -v9, v4, v8
	s_delay_alu instid0(VALU_DEP_2) | instskip(SKIP_1) | instid1(VALU_DEP_2)
	v_fma_f32 v7, v10, v4, -v0
	v_fma_f32 v11, v9, v4, v8
	v_fmac_f32_e32 v7, v9, v3
	v_fma_f32 v1, v10, v4, v0
	v_fmac_f32_e32 v6, v3, v10
	s_delay_alu instid0(VALU_DEP_4) | instskip(NEXT) | instid1(VALU_DEP_3)
	v_fma_f32 v0, -v3, v10, v11
	v_fmac_f32_e32 v1, v9, v3
	ds_store_b64 v2, v[6:7] offset:7616
.LBB0_16:
	s_wait_alu 0xfffe
	s_and_not1_saveexec_b32 s0, s1
	s_cbranch_execz .LBB0_18
; %bb.17:
	ds_load_b64 v[3:4], v60 offset:3808
	s_wait_dscnt 0x0
	v_dual_add_f32 v3, v3, v3 :: v_dual_mul_f32 v4, -2.0, v4
	ds_store_b64 v60, v[3:4] offset:3808
.LBB0_18:
	s_wait_alu 0xfffe
	s_or_b32 exec_lo, exec_lo, s0
	v_mov_b32_e32 v43, 0
	s_add_nc_u64 s[0:1], s[8:9], 0x1d38
	v_lshl_add_u32 v63, v42, 3, 0
	s_delay_alu instid0(VALU_DEP_2) | instskip(NEXT) | instid1(VALU_DEP_2)
	v_lshlrev_b64_e32 v[3:4], 3, v[42:43]
	v_lshl_add_u32 v43, v5, 3, v63
	s_wait_alu 0xfffe
	s_delay_alu instid0(VALU_DEP_2) | instskip(SKIP_1) | instid1(VALU_DEP_3)
	v_add_co_u32 v3, s0, s0, v3
	s_wait_alu 0xf1ff
	v_add_co_ci_u32_e64 v4, s0, s1, v4, s0
	s_mov_b32 s1, exec_lo
	s_clause 0x5
	global_load_b64 v[6:7], v[3:4], off offset:544
	global_load_b64 v[8:9], v[3:4], off offset:1088
	global_load_b64 v[10:11], v[3:4], off offset:1632
	global_load_b64 v[12:13], v[3:4], off offset:2176
	global_load_b64 v[14:15], v[3:4], off offset:2720
	global_load_b64 v[3:4], v[3:4], off offset:3264
	ds_store_b64 v61, v[0:1]
	ds_load_b64 v[0:1], v61 offset:544
	ds_load_b64 v[16:17], v2 offset:7072
	s_wait_dscnt 0x0
	v_dual_add_f32 v18, v0, v16 :: v_dual_add_nc_u32 v65, 0x1400, v43
	v_dual_add_f32 v19, v17, v1 :: v_dual_sub_f32 v20, v0, v16
	v_sub_f32_e32 v0, v1, v17
	s_wait_loadcnt 0x5
	s_delay_alu instid0(VALU_DEP_1) | instskip(NEXT) | instid1(VALU_DEP_3)
	v_fma_f32 v1, v19, v7, v0
	v_fma_f32 v21, v20, v7, v18
	v_fma_f32 v16, -v20, v7, v18
	s_delay_alu instid0(VALU_DEP_3) | instskip(SKIP_1) | instid1(VALU_DEP_4)
	v_fmac_f32_e32 v1, v20, v6
	v_fma_f32 v17, v19, v7, -v0
	v_fma_f32 v0, -v6, v19, v21
	s_delay_alu instid0(VALU_DEP_2)
	v_dual_fmac_f32 v16, v6, v19 :: v_dual_fmac_f32 v17, v20, v6
	ds_store_b64 v61, v[0:1] offset:544
	ds_store_b64 v2, v[16:17] offset:7072
	ds_load_b64 v[0:1], v61 offset:1088
	ds_load_b64 v[6:7], v2 offset:6528
	s_wait_dscnt 0x0
	v_dual_add_f32 v16, v0, v6 :: v_dual_add_f32 v17, v7, v1
	v_sub_f32_e32 v18, v0, v6
	v_sub_f32_e32 v0, v1, v7
	s_wait_loadcnt 0x4
	s_delay_alu instid0(VALU_DEP_2) | instskip(NEXT) | instid1(VALU_DEP_2)
	v_fma_f32 v19, v18, v9, v16
	v_fma_f32 v1, v17, v9, v0
	v_fma_f32 v6, -v18, v9, v16
	s_delay_alu instid0(VALU_DEP_2) | instskip(SKIP_2) | instid1(VALU_DEP_2)
	v_fmac_f32_e32 v1, v18, v8
	v_fma_f32 v7, v17, v9, -v0
	v_fma_f32 v0, -v8, v17, v19
	v_dual_fmac_f32 v6, v8, v17 :: v_dual_fmac_f32 v7, v18, v8
	ds_store_b64 v61, v[0:1] offset:1088
	ds_store_b64 v2, v[6:7] offset:6528
	ds_load_b64 v[0:1], v61 offset:1632
	ds_load_b64 v[6:7], v2 offset:5984
	s_wait_dscnt 0x0
	v_dual_add_f32 v8, v0, v6 :: v_dual_add_f32 v9, v7, v1
	v_sub_f32_e32 v16, v0, v6
	v_sub_f32_e32 v0, v1, v7
	s_wait_loadcnt 0x3
	s_delay_alu instid0(VALU_DEP_2) | instskip(NEXT) | instid1(VALU_DEP_2)
	v_fma_f32 v17, v16, v11, v8
	v_fma_f32 v1, v9, v11, v0
	v_fma_f32 v6, -v16, v11, v8
	s_delay_alu instid0(VALU_DEP_2) | instskip(SKIP_2) | instid1(VALU_DEP_2)
	v_fmac_f32_e32 v1, v16, v10
	v_fma_f32 v7, v9, v11, -v0
	v_fma_f32 v0, -v10, v9, v17
	v_dual_fmac_f32 v6, v10, v9 :: v_dual_fmac_f32 v7, v16, v10
	ds_store_b64 v61, v[0:1] offset:1632
	ds_store_b64 v2, v[6:7] offset:5984
	ds_load_b64 v[0:1], v61 offset:2176
	ds_load_b64 v[6:7], v2 offset:5440
	s_wait_dscnt 0x0
	v_dual_add_f32 v9, v7, v1 :: v_dual_sub_f32 v10, v0, v6
	v_add_f32_e32 v8, v0, v6
	v_sub_f32_e32 v0, v1, v7
	s_wait_loadcnt 0x2
	s_delay_alu instid0(VALU_DEP_1) | instskip(SKIP_1) | instid1(VALU_DEP_2)
	v_fma_f32 v7, v9, v13, -v0
	v_fma_f32 v1, v9, v13, v0
	v_fmac_f32_e32 v7, v10, v12
	v_fma_f32 v11, v10, v13, v8
	v_fma_f32 v6, -v10, v13, v8
	s_delay_alu instid0(VALU_DEP_4) | instskip(NEXT) | instid1(VALU_DEP_3)
	v_fmac_f32_e32 v1, v10, v12
	v_fma_f32 v0, -v12, v9, v11
	s_delay_alu instid0(VALU_DEP_3)
	v_fmac_f32_e32 v6, v12, v9
	ds_store_b64 v61, v[0:1] offset:2176
	ds_store_b64 v2, v[6:7] offset:5440
	ds_load_b64 v[0:1], v61 offset:2720
	ds_load_b64 v[6:7], v2 offset:4896
	s_wait_dscnt 0x0
	v_dual_add_f32 v8, v0, v6 :: v_dual_add_f32 v9, v7, v1
	v_sub_f32_e32 v10, v0, v6
	v_sub_f32_e32 v0, v1, v7
	s_wait_loadcnt 0x1
	s_delay_alu instid0(VALU_DEP_2) | instskip(NEXT) | instid1(VALU_DEP_2)
	v_fma_f32 v11, v10, v15, v8
	v_fma_f32 v1, v9, v15, v0
	v_fma_f32 v6, -v10, v15, v8
	v_fma_f32 v7, v9, v15, -v0
	s_delay_alu instid0(VALU_DEP_4) | instskip(NEXT) | instid1(VALU_DEP_4)
	v_fma_f32 v0, -v14, v9, v11
	v_fmac_f32_e32 v1, v10, v14
	s_delay_alu instid0(VALU_DEP_4) | instskip(NEXT) | instid1(VALU_DEP_4)
	v_fmac_f32_e32 v6, v14, v9
	v_fmac_f32_e32 v7, v10, v14
	ds_store_b64 v61, v[0:1] offset:2720
	ds_store_b64 v2, v[6:7] offset:4896
	ds_load_b64 v[0:1], v61 offset:3264
	ds_load_b64 v[6:7], v2 offset:4352
	s_wait_dscnt 0x0
	v_dual_add_f32 v9, v7, v1 :: v_dual_sub_f32 v10, v0, v6
	v_add_f32_e32 v8, v0, v6
	v_sub_f32_e32 v0, v1, v7
	s_wait_loadcnt 0x0
	s_delay_alu instid0(VALU_DEP_1) | instskip(SKIP_1) | instid1(VALU_DEP_2)
	v_fma_f32 v1, v9, v4, v0
	v_fma_f32 v7, v9, v4, -v0
	v_fmac_f32_e32 v1, v10, v3
	v_fma_f32 v11, v10, v4, v8
	v_fma_f32 v6, -v10, v4, v8
	s_delay_alu instid0(VALU_DEP_4) | instskip(NEXT) | instid1(VALU_DEP_3)
	v_fmac_f32_e32 v7, v10, v3
	v_fma_f32 v0, -v3, v9, v11
	s_delay_alu instid0(VALU_DEP_3)
	v_dual_fmac_f32 v6, v3, v9 :: v_dual_add_nc_u32 v3, 0x1800, v43
	ds_store_b64 v61, v[0:1] offset:3264
	ds_store_b64 v2, v[6:7] offset:4352
	global_wb scope:SCOPE_SE
	s_wait_dscnt 0x0
	s_barrier_signal -1
	s_barrier_wait -1
	global_inv scope:SCOPE_SE
	global_wb scope:SCOPE_SE
	s_barrier_signal -1
	s_barrier_wait -1
	global_inv scope:SCOPE_SE
	ds_load_2addr_b64 v[36:39], v43 offset0:56 offset1:112
	ds_load_2addr_b64 v[0:3], v3 offset0:72 offset1:128
	;; [unrolled: 1-line block ×4, first 2 shown]
	v_add_nc_u32_e32 v66, 0x800, v43
	v_add_nc_u32_e32 v64, 0x1000, v43
	s_wait_dscnt 0x2
	v_dual_add_f32 v69, v0, v38 :: v_dual_add_nc_u32 v12, 0xc00, v43
	s_wait_dscnt 0x0
	v_add_f32_e32 v73, v4, v34
	v_sub_f32_e32 v91, v32, v6
	ds_load_2addr_b64 v[28:31], v66 offset0:24 offset1:80
	ds_load_2addr_b64 v[8:11], v64 offset0:104 offset1:160
	ds_load_b64 v[48:49], v61
	ds_load_2addr_b64 v[24:27], v66 offset0:136 offset1:192
	ds_load_2addr_b64 v[12:15], v12 offset0:120 offset1:176
	v_dual_sub_f32 v86, v36, v2 :: v_dual_sub_f32 v93, v34, v4
	v_dual_add_f32 v68, v3, v37 :: v_dual_sub_f32 v83, v33, v7
	v_sub_f32_e32 v88, v38, v0
	s_delay_alu instid0(VALU_DEP_3) | instskip(SKIP_3) | instid1(VALU_DEP_4)
	v_dual_mul_f32 v114, 0xbf2c7751, v86 :: v_dual_sub_f32 v79, v37, v3
	v_dual_add_f32 v70, v1, v39 :: v_dual_sub_f32 v85, v35, v5
	v_sub_f32_e32 v82, v39, v1
	v_dual_mul_f32 v130, 0xbf65296c, v86 :: v_dual_mul_f32 v159, 0xbf65296c, v93
	v_fma_f32 v17, 0x3f3d2fb0, v68, -v114
	v_dual_add_f32 v67, v2, v36 :: v_dual_add_f32 v72, v7, v33
	v_mul_f32_e32 v139, 0xbf7ee86f, v79
	s_wait_dscnt 0x3
	v_sub_f32_e32 v87, v29, v11
	v_add_f32_e32 v75, v10, v28
	v_sub_f32_e32 v95, v28, v10
	s_wait_dscnt 0x0
	v_dual_sub_f32 v94, v24, v14 :: v_dual_mul_f32 v113, 0xbf7ee86f, v88
	v_dual_sub_f32 v92, v25, v15 :: v_dual_mul_f32 v107, 0xbf7ee86f, v82
	v_dual_mul_f32 v112, 0xbf4c4adb, v91 :: v_dual_mul_f32 v129, 0xbf4c4adb, v88
	s_delay_alu instid0(VALU_DEP_3) | instskip(NEXT) | instid1(VALU_DEP_3)
	v_fma_f32 v19, 0x3dbcf732, v70, -v113
	v_mul_f32_e32 v116, 0xbf7ee86f, v92
	v_fma_f32 v169, 0x3ee437d1, v68, -v130
	v_add_f32_e32 v17, v49, v17
	v_dual_add_f32 v74, v5, v35 :: v_dual_add_f32 v77, v8, v30
	v_dual_add_f32 v84, v12, v26 :: v_dual_mul_f32 v111, 0xbe3c28d5, v93
	s_delay_alu instid0(VALU_DEP_4) | instskip(NEXT) | instid1(VALU_DEP_4)
	v_dual_mul_f32 v120, 0x3e3c28d5, v83 :: v_dual_add_f32 v169, v49, v169
	v_dual_mul_f32 v144, 0x3f763a35, v91 :: v_dual_add_f32 v17, v19, v17
	v_fma_f32 v21, 0xbf1a4643, v72, -v112
	v_fma_f32 v170, 0xbf1a4643, v70, -v129
	v_fmamk_f32 v177, v67, 0x3dbcf732, v139
	v_mul_f32_e32 v128, 0x3e3c28d5, v91
	v_dual_add_f32 v76, v11, v29 :: v_dual_mul_f32 v109, 0xbf2c7751, v79
	v_dual_sub_f32 v96, v30, v8 :: v_dual_add_f32 v81, v15, v25
	v_dual_mul_f32 v110, 0x3f06c442, v95 :: v_dual_mul_f32 v153, 0x3f06c442, v82
	v_dual_mul_f32 v134, 0xbf65296c, v87 :: v_dual_add_f32 v19, v170, v169
	v_dual_mul_f32 v140, 0x3f4c4adb, v94 :: v_dual_add_f32 v17, v21, v17
	v_fma_f32 v23, 0xbf7ba420, v74, -v111
	v_add_f32_e32 v177, v48, v177
	v_fma_f32 v171, 0xbf7ba420, v72, -v128
	v_mul_f32_e32 v162, 0xbf763a35, v86
	v_dual_add_f32 v78, v9, v31 :: v_dual_sub_f32 v89, v31, v9
	v_dual_mul_f32 v108, 0x3f763a35, v96 :: v_dual_mul_f32 v119, 0x3f763a35, v85
	v_dual_mul_f32 v122, 0xbf65296c, v79 :: v_dual_mul_f32 v151, 0xbf65296c, v85
	v_dual_mul_f32 v152, 0x3f2c7751, v83 :: v_dual_add_f32 v17, v23, v17
	v_fma_f32 v51, 0xbf59a7d5, v76, -v110
	v_add_f32_e32 v19, v171, v19
	v_fma_f32 v201, 0xbe8c1d8e, v68, -v162
	v_dual_mul_f32 v146, 0xbf7ee86f, v86 :: v_dual_add_f32 v71, v6, v32
	v_dual_add_f32 v80, v14, v24 :: v_dual_sub_f32 v97, v27, v13
	v_dual_mul_f32 v106, 0xbf4c4adb, v83 :: v_dual_mul_f32 v121, 0xbf4c4adb, v82
	v_dual_mul_f32 v104, 0xbe3c28d5, v85 :: v_dual_mul_f32 v145, 0xbe3c28d5, v88
	v_dual_mul_f32 v160, 0x3f2c7751, v91 :: v_dual_add_f32 v17, v51, v17
	v_fma_f32 v53, 0xbe8c1d8e, v78, -v108
	v_fmamk_f32 v58, v67, 0x3ee437d1, v122
	v_fma_f32 v182, 0xbe8c1d8e, v72, -v144
	v_dual_fmamk_f32 v16, v67, 0x3f3d2fb0, v109 :: v_dual_add_f32 v201, v49, v201
	v_mul_f32_e32 v161, 0x3f06c442, v88
	v_fma_f32 v179, 0x3dbcf732, v68, -v146
	v_dual_sub_f32 v98, v26, v12 :: v_dual_mul_f32 v103, 0x3f06c442, v87
	s_delay_alu instid0(VALU_DEP_4) | instskip(NEXT) | instid1(VALU_DEP_3)
	v_dual_mul_f32 v115, 0xbf06c442, v97 :: v_dual_add_f32 v16, v48, v16
	v_dual_mul_f32 v124, 0xbf7ee86f, v94 :: v_dual_add_f32 v179, v49, v179
	v_dual_fmamk_f32 v18, v69, 0x3dbcf732, v107 :: v_dual_fmamk_f32 v167, v80, 0x3dbcf732, v116
	v_dual_fmamk_f32 v20, v71, 0xbf1a4643, v106 :: v_dual_fmamk_f32 v59, v69, 0xbf1a4643, v121
	v_fma_f32 v180, 0xbf7ba420, v70, -v145
	v_fma_f32 v202, 0xbf59a7d5, v70, -v161
	v_add_f32_e32 v17, v53, v17
	v_dual_mul_f32 v137, 0x3eb8f4ab, v85 :: v_dual_add_f32 v58, v48, v58
	v_dual_mul_f32 v123, 0xbf06c442, v98 :: v_dual_add_f32 v16, v18, v16
	v_mul_f32_e32 v143, 0x3eb8f4ab, v93
	v_mul_f32_e32 v132, 0x3f4c4adb, v92
	v_fma_f32 v203, 0x3f3d2fb0, v72, -v160
	v_dual_add_f32 v18, v59, v58 :: v_dual_add_f32 v59, v180, v179
	v_add_f32_e32 v170, v202, v201
	v_mul_f32_e32 v154, 0xbf763a35, v79
	v_fma_f32 v184, 0x3f6eb680, v74, -v143
	s_delay_alu instid0(VALU_DEP_4) | instskip(NEXT) | instid1(VALU_DEP_4)
	v_dual_fmamk_f32 v194, v69, 0xbf59a7d5, v153 :: v_dual_add_f32 v21, v182, v59
	v_dual_add_f32 v59, v203, v170 :: v_dual_fmamk_f32 v164, v73, 0xbe8c1d8e, v119
	s_delay_alu instid0(VALU_DEP_4) | instskip(SKIP_3) | instid1(VALU_DEP_4)
	v_fmamk_f32 v193, v67, 0xbe8c1d8e, v154
	v_mul_f32_e32 v136, 0xbe3c28d5, v82
	v_dual_mul_f32 v127, 0x3f763a35, v93 :: v_dual_mul_f32 v138, 0x3f763a35, v83
	v_dual_mul_f32 v150, 0xbe3c28d5, v87 :: v_dual_add_f32 v21, v184, v21
	v_dual_add_f32 v193, v48, v193 :: v_dual_mul_f32 v142, 0xbf65296c, v95
	v_dual_add_f32 v90, v13, v27 :: v_dual_mul_f32 v101, 0x3f763a35, v89
	v_dual_mul_f32 v117, 0xbeb8f4ab, v89 :: v_dual_mul_f32 v148, 0xbeb8f4ab, v92
	s_delay_alu instid0(VALU_DEP_3) | instskip(NEXT) | instid1(VALU_DEP_4)
	v_add_f32_e32 v169, v194, v193
	v_fma_f32 v186, 0x3ee437d1, v76, -v142
	v_dual_mul_f32 v133, 0xbf06c442, v89 :: v_dual_add_f32 v16, v20, v16
	v_mul_f32_e32 v158, 0xbe3c28d5, v95
	v_fmamk_f32 v163, v71, 0xbf7ba420, v120
	v_fma_f32 v172, 0xbe8c1d8e, v74, -v127
	v_dual_fmamk_f32 v22, v73, 0xbf7ba420, v104 :: v_dual_add_f32 v21, v186, v21
	v_fmamk_f32 v178, v69, 0xbf7ba420, v136
	v_dual_mul_f32 v118, 0x3f2c7751, v87 :: v_dual_mul_f32 v131, 0x3f2c7751, v97
	v_mul_f32_e32 v141, 0xbf06c442, v96
	v_dual_mul_f32 v149, 0x3f7ee86f, v89 :: v_dual_add_f32 v18, v163, v18
	v_dual_fmamk_f32 v52, v77, 0xbe8c1d8e, v101 :: v_dual_fmamk_f32 v181, v71, 0xbe8c1d8e, v138
	v_dual_fmamk_f32 v166, v77, 0x3f6eb680, v117 :: v_dual_fmamk_f32 v199, v80, 0x3f6eb680, v148
	v_fmamk_f32 v197, v75, 0xbf7ba420, v150
	v_fmamk_f32 v195, v71, 0x3f3d2fb0, v152
	v_fma_f32 v204, 0x3ee437d1, v74, -v159
	v_fmamk_f32 v50, v75, 0xbf59a7d5, v103
	v_dual_add_f32 v58, v178, v177 :: v_dual_add_f32 v19, v172, v19
	v_dual_mul_f32 v155, 0xbf4c4adb, v98 :: v_dual_add_f32 v16, v22, v16
	v_dual_mul_f32 v126, 0x3f2c7751, v95 :: v_dual_mul_f32 v135, 0x3f2c7751, v98
	s_delay_alu instid0(VALU_DEP_3) | instskip(SKIP_4) | instid1(VALU_DEP_3)
	v_dual_mul_f32 v147, 0xbf4c4adb, v97 :: v_dual_add_f32 v20, v181, v58
	v_dual_mul_f32 v157, 0x3f7ee86f, v96 :: v_dual_add_f32 v58, v195, v169
	v_dual_fmamk_f32 v185, v75, 0x3ee437d1, v134 :: v_dual_fmamk_f32 v196, v73, 0x3ee437d1, v151
	v_dual_fmamk_f32 v165, v75, 0x3f3d2fb0, v118 :: v_dual_add_f32 v18, v164, v18
	v_dual_add_f32 v23, v204, v59 :: v_dual_add_f32 v16, v50, v16
	v_dual_add_f32 v22, v196, v58 :: v_dual_fmamk_f32 v183, v73, 0x3f6eb680, v137
	v_dual_mul_f32 v100, 0x3f65296c, v92 :: v_dual_mul_f32 v105, 0x3f65296c, v94
	v_dual_mul_f32 v99, 0x3eb8f4ab, v97 :: v_dual_mul_f32 v102, 0x3eb8f4ab, v98
	;; [unrolled: 1-line block ×3, first 2 shown]
	v_fma_f32 v173, 0x3f3d2fb0, v76, -v126
	v_dual_fmamk_f32 v189, v80, 0xbf1a4643, v132 :: v_dual_add_f32 v18, v165, v18
	v_fma_f32 v205, 0xbf7ba420, v76, -v158
	v_dual_add_f32 v16, v52, v16 :: v_dual_fmamk_f32 v187, v77, 0xbf59a7d5, v133
	v_add_f32_e32 v20, v183, v20
	v_dual_fmamk_f32 v54, v80, 0x3ee437d1, v100 :: v_dual_add_f32 v19, v173, v19
	v_fma_f32 v55, 0x3ee437d1, v81, -v105
	v_dual_fmamk_f32 v56, v84, 0x3f6eb680, v99 :: v_dual_add_f32 v23, v205, v23
	v_fma_f32 v174, 0x3f6eb680, v78, -v125
	v_fma_f32 v188, 0xbf59a7d5, v78, -v141
	v_dual_fmamk_f32 v191, v84, 0x3f3d2fb0, v131 :: v_dual_add_f32 v20, v185, v20
	v_dual_fmamk_f32 v198, v77, 0x3dbcf732, v149 :: v_dual_add_f32 v17, v55, v17
	v_fma_f32 v206, 0x3dbcf732, v78, -v157
	v_add_f32_e32 v18, v166, v18
	v_add_f32_e32 v22, v197, v22
	v_dual_fmamk_f32 v168, v84, 0xbf59a7d5, v115 :: v_dual_add_f32 v19, v174, v19
	v_fma_f32 v175, 0x3dbcf732, v81, -v124
	v_fma_f32 v190, 0xbf1a4643, v81, -v140
	;; [unrolled: 1-line block ×3, first 2 shown]
	v_dual_add_f32 v21, v188, v21 :: v_dual_add_f32 v20, v187, v20
	v_add_f32_e32 v23, v206, v23
	v_add_f32_e32 v22, v198, v22
	v_fma_f32 v57, 0x3f6eb680, v90, -v102
	v_fma_f32 v176, 0xbf59a7d5, v90, -v123
	;; [unrolled: 1-line block ×3, first 2 shown]
	v_dual_add_f32 v53, v207, v23 :: v_dual_fmamk_f32 v200, v84, 0xbf1a4643, v147
	v_add_f32_e32 v19, v175, v19
	v_fma_f32 v208, 0xbf1a4643, v90, -v155
	v_dual_add_f32 v16, v54, v16 :: v_dual_add_f32 v23, v57, v17
	v_dual_add_f32 v18, v167, v18 :: v_dual_add_f32 v51, v190, v21
	s_delay_alu instid0(VALU_DEP_4) | instskip(NEXT) | instid1(VALU_DEP_4)
	v_dual_add_f32 v21, v176, v19 :: v_dual_add_f32 v50, v189, v20
	v_dual_add_f32 v52, v199, v22 :: v_dual_add_f32 v17, v208, v53
	s_delay_alu instid0(VALU_DEP_4) | instskip(NEXT) | instid1(VALU_DEP_4)
	v_add_f32_e32 v22, v56, v16
	v_add_f32_e32 v20, v168, v18
	s_delay_alu instid0(VALU_DEP_4) | instskip(NEXT) | instid1(VALU_DEP_4)
	v_dual_add_f32 v19, v192, v51 :: v_dual_add_f32 v18, v191, v50
	v_add_f32_e32 v16, v200, v52
	global_wb scope:SCOPE_SE
	s_barrier_signal -1
	s_barrier_wait -1
	global_inv scope:SCOPE_SE
	v_cmpx_gt_u32_e32 56, v42
	s_cbranch_execz .LBB0_20
; %bb.19:
	v_mul_f32_e32 v166, 0x3f763a35, v82
	v_mul_f32_e32 v58, 0xbe8c1d8e, v70
	;; [unrolled: 1-line block ×4, first 2 shown]
	v_dual_mul_f32 v175, 0x3f65296c, v97 :: v_dual_mul_f32 v178, 0x3f65296c, v82
	v_fmamk_f32 v53, v69, 0xbe8c1d8e, v166
	v_fmamk_f32 v52, v88, 0xbf763a35, v58
	v_mul_f32_e32 v163, 0xbf4c4adb, v79
	v_mul_f32_e32 v56, 0xbf1a4643, v68
	;; [unrolled: 1-line block ×4, first 2 shown]
	v_dual_mul_f32 v185, 0x3f6eb680, v76 :: v_dual_mul_f32 v194, 0x3f6eb680, v70
	v_fmamk_f32 v51, v67, 0xbf1a4643, v163
	v_mul_f32_e32 v164, 0xbf59a7d5, v74
	v_fmamk_f32 v189, v96, 0x3e3c28d5, v187
	v_mul_f32_e32 v171, 0xbf2c7751, v89
	s_delay_alu instid0(VALU_DEP_4) | instskip(SKIP_3) | instid1(VALU_DEP_4)
	v_dual_mul_f32 v170, 0x3f3d2fb0, v78 :: v_dual_add_f32 v51, v48, v51
	v_fmamk_f32 v50, v86, 0x3f4c4adb, v56
	v_mul_f32_e32 v195, 0x3eb8f4ab, v82
	v_dual_mul_f32 v173, 0xbe3c28d5, v92 :: v_dual_mul_f32 v188, 0xbe3c28d5, v89
	v_add_f32_e32 v51, v53, v51
	s_delay_alu instid0(VALU_DEP_4) | instskip(SKIP_3) | instid1(VALU_DEP_4)
	v_dual_mul_f32 v59, 0x3f6eb680, v72 :: v_dual_add_f32 v50, v49, v50
	v_fmamk_f32 v53, v93, 0x3f06c442, v164
	v_mul_f32_e32 v172, 0xbf7ba420, v81
	v_fmamk_f32 v198, v69, 0x3f6eb680, v195
	v_fmamk_f32 v54, v91, 0x3eb8f4ab, v59
	v_dual_add_f32 v50, v52, v50 :: v_dual_mul_f32 v165, 0x3dbcf732, v76
	v_mul_f32_e32 v57, 0xbf59a7d5, v68
	v_dual_mul_f32 v174, 0x3ee437d1, v90 :: v_dual_fmamk_f32 v181, v69, 0x3ee437d1, v178
	s_delay_alu instid0(VALU_DEP_3) | instskip(SKIP_3) | instid1(VALU_DEP_4)
	v_dual_add_f32 v50, v54, v50 :: v_dual_mul_f32 v167, 0xbeb8f4ab, v83
	v_fmamk_f32 v54, v73, 0xbf59a7d5, v168
	v_mul_f32_e32 v182, 0xbf7ee86f, v83
	v_mul_f32_e32 v180, 0x3dbcf732, v72
	v_add_f32_e32 v50, v53, v50
	v_fmamk_f32 v52, v71, 0x3f6eb680, v167
	v_dual_mul_f32 v183, 0xbf1a4643, v74 :: v_dual_mul_f32 v202, 0xbf1a4643, v76
	v_mul_f32_e32 v199, 0xbf06c442, v83
	v_mul_f32_e32 v197, 0xbf59a7d5, v72
	s_delay_alu instid0(VALU_DEP_4) | instskip(SKIP_2) | instid1(VALU_DEP_3)
	v_dual_add_f32 v51, v52, v51 :: v_dual_fmamk_f32 v52, v95, 0xbf7ee86f, v165
	v_mul_f32_e32 v201, 0x3f2c7751, v85
	v_dual_mul_f32 v203, 0xbf4c4adb, v87 :: v_dual_fmac_f32 v56, 0xbf4c4adb, v86
	v_dual_add_f32 v51, v54, v51 :: v_dual_add_f32 v50, v52, v50
	v_fmamk_f32 v54, v84, 0x3ee437d1, v175
	v_fmamk_f32 v55, v67, 0xbf59a7d5, v176
	;; [unrolled: 1-line block ×4, first 2 shown]
	v_mul_f32_e32 v169, 0x3f7ee86f, v87
	v_mul_f32_e32 v205, 0x3f65296c, v89
	v_dual_add_f32 v55, v48, v55 :: v_dual_mul_f32 v190, 0x3f3d2fb0, v81
	s_delay_alu instid0(VALU_DEP_4) | instskip(SKIP_2) | instid1(VALU_DEP_4)
	v_add_f32_e32 v50, v52, v50
	v_fmamk_f32 v52, v94, 0x3e3c28d5, v172
	v_fmamk_f32 v53, v75, 0x3dbcf732, v169
	v_add_f32_e32 v55, v181, v55
	v_fmamk_f32 v181, v71, 0x3dbcf732, v182
	s_delay_alu instid0(VALU_DEP_4) | instskip(NEXT) | instid1(VALU_DEP_4)
	v_dual_mul_f32 v191, 0x3f2c7751, v92 :: v_dual_add_f32 v50, v52, v50
	v_add_f32_e32 v51, v53, v51
	v_fmamk_f32 v53, v77, 0x3f3d2fb0, v171
	s_delay_alu instid0(VALU_DEP_4) | instskip(SKIP_1) | instid1(VALU_DEP_3)
	v_dual_fmamk_f32 v52, v98, 0xbf65296c, v174 :: v_dual_add_f32 v55, v181, v55
	v_fma_f32 v178, 0x3ee437d1, v69, -v178
	v_dual_fmac_f32 v58, 0x3f763a35, v88 :: v_dual_add_f32 v51, v53, v51
	v_fmamk_f32 v53, v80, 0xbf7ba420, v173
	v_fmac_f32_e32 v177, 0x3f65296c, v88
	v_fma_f32 v163, 0xbf1a4643, v67, -v163
	v_fma_f32 v166, 0xbe8c1d8e, v69, -v166
	s_delay_alu instid0(VALU_DEP_4) | instskip(SKIP_4) | instid1(VALU_DEP_4)
	v_dual_fmac_f32 v174, 0x3f65296c, v98 :: v_dual_add_f32 v53, v53, v51
	v_fmamk_f32 v51, v86, 0x3f06c442, v57
	v_fmac_f32_e32 v57, 0xbf06c442, v86
	v_dual_add_f32 v163, v48, v163 :: v_dual_mul_f32 v192, 0xbf763a35, v97
	v_fmac_f32_e32 v165, 0x3f7ee86f, v95
	v_add_f32_e32 v51, v49, v51
	v_fmac_f32_e32 v59, 0xbeb8f4ab, v91
	s_delay_alu instid0(VALU_DEP_4) | instskip(SKIP_1) | instid1(VALU_DEP_4)
	v_dual_add_f32 v163, v166, v163 :: v_dual_mul_f32 v200, 0x3f3d2fb0, v74
	v_fma_f32 v166, 0x3f6eb680, v71, -v167
	v_add_f32_e32 v51, v179, v51
	v_fmamk_f32 v179, v91, 0x3f7ee86f, v180
	v_mul_f32_e32 v184, 0x3f4c4adb, v85
	v_fma_f32 v175, 0x3ee437d1, v84, -v175
	v_add_f32_e32 v163, v166, v163
	v_fma_f32 v166, 0xbf59a7d5, v73, -v168
	v_add_f32_e32 v51, v179, v51
	v_fmamk_f32 v179, v93, 0xbf4c4adb, v183
	v_mul_f32_e32 v206, 0xbe8c1d8e, v81
	v_mul_f32_e32 v207, 0xbf763a35, v92
	v_add_f32_e32 v163, v166, v163
	v_dual_mul_f32 v83, 0xbf65296c, v83 :: v_dual_add_f32 v36, v48, v36
	v_add_f32_e32 v51, v179, v51
	v_fmamk_f32 v179, v95, 0x3eb8f4ab, v185
	v_fmamk_f32 v208, v80, 0xbe8c1d8e, v207
	;; [unrolled: 1-line block ×3, first 2 shown]
	v_fmac_f32_e32 v194, 0x3eb8f4ab, v88
	s_delay_alu instid0(VALU_DEP_4)
	v_dual_mul_f32 v204, 0x3ee437d1, v78 :: v_dual_add_f32 v179, v179, v51
	v_dual_add_f32 v51, v52, v50 :: v_dual_add_f32 v50, v54, v53
	v_mul_f32_e32 v54, 0xbf7ba420, v68
	v_fma_f32 v176, 0xbf59a7d5, v67, -v176
	v_add_f32_e32 v57, v49, v57
	v_fmac_f32_e32 v187, 0xbe3c28d5, v96
	v_fmac_f32_e32 v180, 0xbf7ee86f, v91
	s_delay_alu instid0(VALU_DEP_4) | instskip(SKIP_2) | instid1(VALU_DEP_3)
	v_dual_fmamk_f32 v193, v86, 0x3e3c28d5, v54 :: v_dual_add_f32 v176, v48, v176
	v_fmac_f32_e32 v54, 0xbe3c28d5, v86
	v_dual_mul_f32 v186, 0xbeb8f4ab, v87 :: v_dual_add_f32 v57, v177, v57
	v_dual_add_f32 v193, v49, v193 :: v_dual_add_f32 v176, v178, v176
	s_delay_alu instid0(VALU_DEP_3) | instskip(SKIP_2) | instid1(VALU_DEP_3)
	v_add_f32_e32 v54, v49, v54
	v_dual_add_f32 v52, v189, v179 :: v_dual_fmamk_f32 v179, v94, 0xbf2c7751, v190
	v_mul_f32_e32 v189, 0xbe8c1d8e, v90
	v_dual_add_f32 v193, v196, v193 :: v_dual_add_f32 v54, v194, v54
	v_mul_f32_e32 v194, 0x3dbcf732, v90
	s_delay_alu instid0(VALU_DEP_3) | instskip(SKIP_3) | instid1(VALU_DEP_3)
	v_dual_add_f32 v52, v179, v52 :: v_dual_fmamk_f32 v53, v98, 0x3f763a35, v189
	v_mul_f32_e32 v179, 0xbe3c28d5, v79
	v_dual_fmac_f32 v190, 0x3f2c7751, v94 :: v_dual_add_f32 v57, v180, v57
	v_mul_f32_e32 v168, 0x3f3d2fb0, v68
	v_dual_add_f32 v53, v53, v52 :: v_dual_fmamk_f32 v52, v67, 0xbf7ba420, v179
	v_fma_f32 v178, 0x3dbcf732, v71, -v182
	v_fmac_f32_e32 v164, 0xbf06c442, v93
	v_fmac_f32_e32 v183, 0x3f4c4adb, v93
	;; [unrolled: 1-line block ×3, first 2 shown]
	v_add_f32_e32 v52, v48, v52
	v_add_f32_e32 v176, v178, v176
	v_fma_f32 v178, 0xbf1a4643, v73, -v184
	v_dual_add_f32 v57, v183, v57 :: v_dual_mul_f32 v166, 0x3ee437d1, v67
	s_delay_alu instid0(VALU_DEP_4) | instskip(SKIP_4) | instid1(VALU_DEP_4)
	v_add_f32_e32 v52, v198, v52
	v_fmamk_f32 v198, v71, 0xbf59a7d5, v199
	v_fmamk_f32 v196, v91, 0x3f06c442, v197
	v_add_f32_e32 v176, v178, v176
	v_fma_f32 v178, 0x3f6eb680, v75, -v186
	v_dual_fmac_f32 v185, 0xbeb8f4ab, v95 :: v_dual_add_f32 v52, v198, v52
	v_fmamk_f32 v198, v73, 0x3f3d2fb0, v201
	v_fmamk_f32 v181, v73, 0xbf1a4643, v184
	s_delay_alu instid0(VALU_DEP_4) | instskip(SKIP_1) | instid1(VALU_DEP_4)
	v_dual_add_f32 v193, v196, v193 :: v_dual_add_f32 v176, v178, v176
	v_fma_f32 v178, 0xbf7ba420, v77, -v188
	v_add_f32_e32 v52, v198, v52
	s_delay_alu instid0(VALU_DEP_4) | instskip(NEXT) | instid1(VALU_DEP_3)
	v_dual_fmamk_f32 v198, v75, 0xbf1a4643, v203 :: v_dual_add_f32 v55, v181, v55
	v_dual_fmac_f32 v197, 0xbf06c442, v91 :: v_dual_add_f32 v176, v178, v176
	v_fmac_f32_e32 v172, 0xbe3c28d5, v94
	s_delay_alu instid0(VALU_DEP_3) | instskip(SKIP_1) | instid1(VALU_DEP_4)
	v_add_f32_e32 v52, v198, v52
	v_fmamk_f32 v198, v77, 0x3ee437d1, v205
	v_dual_fmamk_f32 v181, v75, 0x3f6eb680, v186 :: v_dual_add_f32 v54, v197, v54
	v_dual_mul_f32 v91, 0xbf65296c, v91 :: v_dual_add_f32 v114, v114, v168
	s_delay_alu instid0(VALU_DEP_2) | instskip(SKIP_4) | instid1(VALU_DEP_4)
	v_dual_add_f32 v198, v198, v52 :: v_dual_add_f32 v55, v181, v55
	v_fmamk_f32 v181, v77, 0xbf7ba420, v188
	v_fmamk_f32 v196, v93, 0xbf2c7751, v200
	v_add_f32_e32 v37, v49, v37
	v_dual_mul_f32 v79, 0xbeb8f4ab, v79 :: v_dual_add_f32 v36, v36, v38
	v_add_f32_e32 v55, v181, v55
	v_fmamk_f32 v181, v80, 0x3f3d2fb0, v191
	v_dual_add_f32 v193, v196, v193 :: v_dual_fmamk_f32 v196, v95, 0x3f4c4adb, v202
	v_fmac_f32_e32 v202, 0xbf4c4adb, v95
	v_mul_f32_e32 v95, 0xbf763a35, v95
	s_delay_alu instid0(VALU_DEP_4) | instskip(SKIP_4) | instid1(VALU_DEP_4)
	v_add_f32_e32 v55, v181, v55
	v_fmamk_f32 v181, v84, 0xbe8c1d8e, v192
	v_add_f32_e32 v193, v196, v193
	v_dual_add_f32 v37, v37, v39 :: v_dual_add_f32 v32, v36, v32
	v_mul_f32_e32 v38, 0xbf06c442, v94
	v_add_f32_e32 v52, v181, v55
	v_fma_f32 v55, 0xbf7ba420, v67, -v179
	v_add_f32_e32 v181, v208, v198
	v_fma_f32 v178, 0x3f3d2fb0, v80, -v191
	v_add_f32_e32 v33, v37, v33
	v_dual_mul_f32 v37, 0xbf7ee86f, v85 :: v_dual_add_f32 v32, v32, v34
	v_add_f32_e32 v55, v48, v55
	v_fmamk_f32 v196, v96, 0xbf65296c, v204
	v_add_f32_e32 v176, v178, v176
	v_fmac_f32_e32 v204, 0x3f65296c, v96
	v_fma_f32 v178, 0xbe8c1d8e, v84, -v192
	s_delay_alu instid0(VALU_DEP_4) | instskip(SKIP_4) | instid1(VALU_DEP_4)
	v_dual_mul_f32 v96, 0xbf4c4adb, v96 :: v_dual_add_f32 v193, v196, v193
	v_fmamk_f32 v196, v94, 0x3f763a35, v206
	v_fmac_f32_e32 v206, 0xbf763a35, v94
	v_fma_f32 v180, 0xbe8c1d8e, v80, -v207
	v_dual_add_f32 v33, v33, v35 :: v_dual_add_f32 v28, v32, v28
	v_add_f32_e32 v179, v196, v193
	v_fma_f32 v193, 0x3f6eb680, v69, -v195
	v_mul_f32_e32 v195, 0x3f7ee86f, v97
	v_fma_f32 v35, 0x3dbcf732, v73, -v37
	v_dual_mul_f32 v36, 0xbf763a35, v87 :: v_dual_add_f32 v29, v33, v29
	s_delay_alu instid0(VALU_DEP_4) | instskip(SKIP_2) | instid1(VALU_DEP_4)
	v_dual_add_f32 v28, v28, v30 :: v_dual_add_f32 v55, v193, v55
	v_fma_f32 v193, 0xbf59a7d5, v71, -v199
	v_fma_f32 v199, 0x3f3d2fb0, v73, -v201
	;; [unrolled: 1-line block ×3, first 2 shown]
	s_delay_alu instid0(VALU_DEP_4) | instskip(NEXT) | instid1(VALU_DEP_4)
	v_dual_add_f32 v29, v29, v31 :: v_dual_add_f32 v24, v28, v24
	v_dual_add_f32 v193, v193, v55 :: v_dual_fmamk_f32 v196, v98, 0xbf7ee86f, v194
	v_fmac_f32_e32 v200, 0x3f2c7751, v93
	v_fmac_f32_e32 v194, 0x3f7ee86f, v98
	v_fmamk_f32 v197, v84, 0x3dbcf732, v195
	v_mul_f32_e32 v93, 0xbf7ee86f, v93
	v_add_f32_e32 v55, v196, v179
	v_add_f32_e32 v198, v200, v54
	v_mul_f32_e32 v30, 0xbe3c28d5, v98
	v_add_f32_e32 v54, v197, v181
	v_add_f32_e32 v181, v199, v193
	v_fma_f32 v193, 0xbf1a4643, v75, -v203
	v_add_f32_e32 v179, v202, v198
	v_dual_add_f32 v25, v29, v25 :: v_dual_add_f32 v24, v24, v26
	v_mul_f32_e32 v29, 0xbf06c442, v92
	s_delay_alu instid0(VALU_DEP_4) | instskip(SKIP_3) | instid1(VALU_DEP_3)
	v_add_f32_e32 v181, v193, v181
	v_fma_f32 v193, 0x3ee437d1, v77, -v205
	v_dual_add_f32 v177, v204, v179 :: v_dual_mul_f32 v28, 0xbe3c28d5, v97
	v_dual_fmac_f32 v37, 0x3dbcf732, v73 :: v_dual_add_f32 v24, v24, v12
	v_add_f32_e32 v179, v193, v181
	s_delay_alu instid0(VALU_DEP_3) | instskip(SKIP_1) | instid1(VALU_DEP_4)
	v_add_f32_e32 v177, v206, v177
	v_dual_add_f32 v181, v185, v57 :: v_dual_fmac_f32 v36, 0xbe8c1d8e, v75
	v_add_f32_e32 v14, v24, v14
	s_delay_alu instid0(VALU_DEP_4) | instskip(NEXT) | instid1(VALU_DEP_4)
	v_add_f32_e32 v179, v180, v179
	v_add_f32_e32 v57, v194, v177
	s_delay_alu instid0(VALU_DEP_4) | instskip(SKIP_4) | instid1(VALU_DEP_4)
	v_add_f32_e32 v177, v187, v181
	v_add_f32_e32 v181, v49, v56
	v_fma_f32 v180, 0x3dbcf732, v84, -v195
	v_add_f32_e32 v8, v14, v8
	v_fma_f32 v14, 0x3ee437d1, v72, -v91
	v_add_f32_e32 v58, v58, v181
	s_delay_alu instid0(VALU_DEP_4) | instskip(NEXT) | instid1(VALU_DEP_4)
	v_add_f32_e32 v56, v180, v179
	v_add_f32_e32 v8, v8, v10
	v_fma_f32 v10, 0x3dbcf732, v74, -v93
	s_delay_alu instid0(VALU_DEP_4) | instskip(SKIP_1) | instid1(VALU_DEP_4)
	v_dual_add_f32 v179, v59, v58 :: v_dual_add_f32 v58, v178, v176
	v_mul_f32_e32 v176, 0x3dbcf732, v70
	v_add_f32_e32 v4, v8, v4
	v_fma_f32 v8, 0xbe8c1d8e, v76, -v95
	s_delay_alu instid0(VALU_DEP_3) | instskip(NEXT) | instid1(VALU_DEP_3)
	v_dual_add_f32 v164, v164, v179 :: v_dual_add_f32 v113, v113, v176
	v_add_f32_e32 v4, v4, v6
	v_fma_f32 v6, 0xbf1a4643, v78, -v96
	s_delay_alu instid0(VALU_DEP_3) | instskip(SKIP_1) | instid1(VALU_DEP_4)
	v_add_f32_e32 v164, v165, v164
	v_fma_f32 v165, 0x3dbcf732, v75, -v169
	v_add_f32_e32 v0, v4, v0
	v_fma_f32 v4, 0xbf59a7d5, v81, -v38
	s_delay_alu instid0(VALU_DEP_3) | instskip(SKIP_3) | instid1(VALU_DEP_4)
	v_dual_add_f32 v164, v170, v164 :: v_dual_add_f32 v163, v165, v163
	v_fma_f32 v165, 0x3f3d2fb0, v77, -v171
	v_mul_f32_e32 v171, 0xbe8c1d8e, v68
	v_mul_f32_e32 v170, 0x3dbcf732, v67
	v_add_f32_e32 v164, v172, v164
	v_dual_mul_f32 v172, 0xbf59a7d5, v70 :: v_dual_add_f32 v177, v190, v177
	s_delay_alu instid0(VALU_DEP_4) | instskip(SKIP_2) | instid1(VALU_DEP_4)
	v_add_f32_e32 v162, v162, v171
	v_fma_f32 v171, 0xbf7ba420, v80, -v173
	v_sub_f32_e32 v139, v170, v139
	v_add_f32_e32 v161, v161, v172
	v_mul_f32_e32 v170, 0x3f3d2fb0, v84
	v_add_f32_e32 v162, v49, v162
	v_mul_f32_e32 v172, 0x3dbcf732, v69
	v_add_f32_e32 v0, v0, v2
	v_mul_u32_u24_e32 v2, 0x88, v42
	s_delay_alu instid0(VALU_DEP_4) | instskip(SKIP_2) | instid1(VALU_DEP_2)
	v_dual_add_f32 v162, v161, v162 :: v_dual_add_f32 v161, v174, v164
	v_mul_f32_e32 v164, 0x3ee437d1, v74
	v_dual_mul_f32 v174, 0x3f3d2fb0, v76 :: v_dual_sub_f32 v107, v172, v107
	v_add_f32_e32 v159, v159, v164
	v_mul_f32_e32 v164, 0xbf7ba420, v76
	s_delay_alu instid0(VALU_DEP_3) | instskip(NEXT) | instid1(VALU_DEP_2)
	v_add_f32_e32 v126, v126, v174
	v_dual_add_f32 v158, v158, v164 :: v_dual_add_f32 v163, v165, v163
	v_mul_f32_e32 v164, 0xbf1a4643, v71
	s_delay_alu instid0(VALU_DEP_2) | instskip(SKIP_1) | instid1(VALU_DEP_1)
	v_add_f32_e32 v163, v171, v163
	v_mul_f32_e32 v171, 0x3f3d2fb0, v72
	v_add_f32_e32 v171, v160, v171
	s_delay_alu instid0(VALU_DEP_1) | instskip(SKIP_1) | instid1(VALU_DEP_2)
	v_dual_mul_f32 v167, 0x3f3d2fb0, v67 :: v_dual_add_f32 v162, v171, v162
	v_dual_mul_f32 v171, 0xbf59a7d5, v69 :: v_dual_add_f32 v114, v49, v114
	v_sub_f32_e32 v109, v167, v109
	s_delay_alu instid0(VALU_DEP_3) | instskip(SKIP_1) | instid1(VALU_DEP_4)
	v_dual_add_f32 v159, v159, v162 :: v_dual_mul_f32 v162, 0x3f3d2fb0, v71
	v_mul_f32_e32 v173, 0xbe8c1d8e, v67
	v_sub_f32_e32 v153, v171, v153
	s_delay_alu instid0(VALU_DEP_3) | instskip(NEXT) | instid1(VALU_DEP_4)
	v_dual_mul_f32 v171, 0xbf7ba420, v70 :: v_dual_add_f32 v158, v158, v159
	v_sub_f32_e32 v152, v162, v152
	s_delay_alu instid0(VALU_DEP_4) | instskip(SKIP_2) | instid1(VALU_DEP_3)
	v_dual_sub_f32 v154, v173, v154 :: v_dual_mul_f32 v169, 0x3ee437d1, v68
	v_mul_f32_e32 v162, 0xbf1a4643, v72
	v_dual_fmac_f32 v189, 0xbf763a35, v98 :: v_dual_add_f32 v160, v175, v163
	v_add_f32_e32 v154, v48, v154
	s_delay_alu instid0(VALU_DEP_4) | instskip(SKIP_1) | instid1(VALU_DEP_4)
	v_add_f32_e32 v130, v130, v169
	v_add_f32_e32 v109, v48, v109
	;; [unrolled: 1-line block ×3, first 2 shown]
	v_mul_f32_e32 v177, 0xbf1a4643, v69
	v_add_f32_e32 v153, v153, v154
	v_dual_mul_f32 v154, 0x3dbcf732, v78 :: v_dual_mul_f32 v165, 0x3dbcf732, v68
	v_dual_add_f32 v130, v49, v130 :: v_dual_add_f32 v107, v107, v109
	s_delay_alu instid0(VALU_DEP_2) | instskip(NEXT) | instid1(VALU_DEP_3)
	v_add_f32_e32 v154, v157, v154
	v_add_f32_e32 v146, v146, v165
	v_mul_f32_e32 v159, 0x3ee437d1, v73
	v_add_f32_e32 v152, v152, v153
	s_delay_alu instid0(VALU_DEP_4) | instskip(NEXT) | instid1(VALU_DEP_3)
	v_dual_mul_f32 v165, 0xbe8c1d8e, v73 :: v_dual_add_f32 v154, v154, v158
	v_dual_add_f32 v146, v49, v146 :: v_dual_sub_f32 v151, v159, v151
	s_delay_alu instid0(VALU_DEP_1) | instskip(SKIP_2) | instid1(VALU_DEP_3)
	v_dual_mul_f32 v158, 0xbf7ba420, v75 :: v_dual_add_f32 v151, v151, v152
	v_mul_f32_e32 v152, 0xbf1a4643, v90
	v_mul_f32_e32 v163, 0xbf1a4643, v70
	v_sub_f32_e32 v150, v158, v150
	v_mul_f32_e32 v158, 0xbe8c1d8e, v72
	s_delay_alu instid0(VALU_DEP_4) | instskip(NEXT) | instid1(VALU_DEP_2)
	v_dual_mul_f32 v153, 0x3f6eb680, v81 :: v_dual_add_f32 v152, v155, v152
	v_dual_mul_f32 v155, 0x3dbcf732, v77 :: v_dual_add_f32 v144, v144, v158
	s_delay_alu instid0(VALU_DEP_2) | instskip(SKIP_1) | instid1(VALU_DEP_3)
	v_dual_add_f32 v153, v156, v153 :: v_dual_mul_f32 v158, 0xbf59a7d5, v75
	v_dual_mul_f32 v173, 0xbf7ba420, v69 :: v_dual_add_f32 v150, v150, v151
	v_sub_f32_e32 v149, v155, v149
	s_delay_alu instid0(VALU_DEP_3)
	v_dual_add_f32 v153, v153, v154 :: v_dual_mul_f32 v154, 0xbf7ba420, v73
	v_mul_f32_e32 v155, 0x3f6eb680, v80
	v_add_f32_e32 v145, v145, v171
	v_mul_f32_e32 v171, 0xbe8c1d8e, v74
	v_dual_add_f32 v149, v149, v150 :: v_dual_mul_f32 v150, 0x3f6eb680, v73
	v_dual_sub_f32 v122, v166, v122 :: v_dual_mul_f32 v157, 0xbf7ba420, v71
	v_dual_sub_f32 v148, v155, v148 :: v_dual_mul_f32 v155, 0x3f6eb680, v74
	s_delay_alu instid0(VALU_DEP_3) | instskip(NEXT) | instid1(VALU_DEP_3)
	v_dual_sub_f32 v136, v173, v136 :: v_dual_sub_f32 v137, v150, v137
	v_add_f32_e32 v122, v48, v122
	v_add_f32_e32 v139, v48, v139
	v_dual_add_f32 v145, v145, v146 :: v_dual_mul_f32 v146, 0xbf1a4643, v84
	v_dual_mul_f32 v159, 0xbf7ba420, v72 :: v_dual_add_f32 v148, v148, v149
	v_mul_f32_e32 v156, 0xbe8c1d8e, v71
	v_add_f32_e32 v155, v143, v155
	s_delay_alu instid0(VALU_DEP_4)
	v_sub_f32_e32 v146, v146, v147
	v_add_f32_e32 v136, v136, v139
	v_add_f32_e32 v145, v144, v145
	v_mul_f32_e32 v149, 0xbf59a7d5, v76
	v_dual_mul_f32 v147, 0x3f3d2fb0, v75 :: v_dual_sub_f32 v138, v156, v138
	v_add_f32_e32 v143, v146, v148
	v_mul_f32_e32 v146, 0x3ee437d1, v76
	v_dual_mul_f32 v156, 0x3dbcf732, v80 :: v_dual_add_f32 v145, v155, v145
	v_mul_f32_e32 v150, 0xbf1a4643, v80
	v_dual_mul_f32 v175, 0x3ee437d1, v75 :: v_dual_add_f32 v136, v138, v136
	s_delay_alu instid0(VALU_DEP_4) | instskip(SKIP_2) | instid1(VALU_DEP_4)
	v_add_f32_e32 v142, v142, v146
	v_mul_f32_e32 v146, 0xbf59a7d5, v78
	v_mul_f32_e32 v155, 0x3f6eb680, v78
	v_dual_mul_f32 v139, 0x3ee437d1, v81 :: v_dual_sub_f32 v134, v175, v134
	s_delay_alu instid0(VALU_DEP_3) | instskip(SKIP_2) | instid1(VALU_DEP_3)
	v_dual_add_f32 v142, v142, v145 :: v_dual_add_f32 v141, v141, v146
	v_dual_mul_f32 v145, 0xbf59a7d5, v77 :: v_dual_add_f32 v136, v137, v136
	v_add_f32_e32 v129, v129, v163
	v_dual_add_f32 v128, v128, v159 :: v_dual_add_f32 v141, v141, v142
	v_mul_f32_e32 v142, 0xbf1a4643, v81
	s_delay_alu instid0(VALU_DEP_4) | instskip(NEXT) | instid1(VALU_DEP_4)
	v_sub_f32_e32 v133, v145, v133
	v_dual_add_f32 v129, v129, v130 :: v_dual_add_f32 v130, v134, v136
	v_mul_f32_e32 v148, 0xbe8c1d8e, v77
	s_delay_alu instid0(VALU_DEP_4) | instskip(SKIP_1) | instid1(VALU_DEP_4)
	v_add_f32_e32 v140, v140, v142
	v_mul_f32_e32 v169, 0x3f6eb680, v90
	v_dual_mul_f32 v163, 0xbf59a7d5, v90 :: v_dual_add_f32 v128, v128, v129
	s_delay_alu instid0(VALU_DEP_3) | instskip(SKIP_3) | instid1(VALU_DEP_4)
	v_dual_add_f32 v127, v127, v171 :: v_dual_add_f32 v140, v140, v141
	v_mul_f32_e32 v141, 0x3f3d2fb0, v90
	v_dual_add_f32 v129, v133, v130 :: v_dual_sub_f32 v130, v150, v132
	v_dual_mul_f32 v137, 0xbf59a7d5, v84 :: v_dual_sub_f32 v132, v177, v121
	v_add_f32_e32 v127, v127, v128
	s_delay_alu instid0(VALU_DEP_4) | instskip(SKIP_2) | instid1(VALU_DEP_3)
	v_add_f32_e32 v134, v135, v141
	v_dual_sub_f32 v120, v157, v120 :: v_dual_mul_f32 v151, 0xbf7ba420, v74
	v_add_f32_e32 v144, v152, v153
	v_dual_add_f32 v122, v132, v122 :: v_dual_add_f32 v121, v134, v140
	v_mul_f32_e32 v152, 0xbe8c1d8e, v78
	v_mul_f32_e32 v138, 0x3dbcf732, v81
	v_dual_add_f32 v128, v130, v129 :: v_dual_add_f32 v125, v125, v155
	v_add_f32_e32 v126, v126, v127
	v_dual_sub_f32 v127, v170, v131 :: v_dual_add_f32 v120, v120, v122
	v_sub_f32_e32 v119, v165, v119
	v_dual_mul_f32 v153, 0x3f6eb680, v77 :: v_dual_mul_f32 v142, 0x3f6eb680, v84
	s_delay_alu instid0(VALU_DEP_4) | instskip(NEXT) | instid1(VALU_DEP_3)
	v_add_f32_e32 v122, v125, v126
	v_dual_add_f32 v124, v124, v138 :: v_dual_add_f32 v119, v119, v120
	s_delay_alu instid0(VALU_DEP_3) | instskip(SKIP_2) | instid1(VALU_DEP_3)
	v_dual_sub_f32 v118, v147, v118 :: v_dual_sub_f32 v117, v153, v117
	v_add_f32_e32 v113, v113, v114
	v_dual_add_f32 v114, v112, v162 :: v_dual_add_f32 v111, v111, v151
	v_add_f32_e32 v118, v118, v119
	v_add_f32_e32 v120, v124, v122
	s_delay_alu instid0(VALU_DEP_3) | instskip(SKIP_1) | instid1(VALU_DEP_4)
	v_dual_add_f32 v122, v123, v163 :: v_dual_add_f32 v113, v114, v113
	v_sub_f32_e32 v116, v156, v116
	v_add_f32_e32 v114, v117, v118
	v_add_f32_e32 v110, v110, v149
	s_delay_alu instid0(VALU_DEP_4) | instskip(SKIP_1) | instid1(VALU_DEP_4)
	v_dual_add_f32 v112, v122, v120 :: v_dual_add_f32 v111, v111, v113
	v_add_f32_e32 v105, v105, v139
	v_add_f32_e32 v113, v116, v114
	v_sub_f32_e32 v106, v164, v106
	v_sub_f32_e32 v104, v154, v104
	v_dual_add_f32 v109, v110, v111 :: v_dual_mul_f32 v110, 0xbeb8f4ab, v86
	v_sub_f32_e32 v114, v137, v115
	s_delay_alu instid0(VALU_DEP_4) | instskip(SKIP_1) | instid1(VALU_DEP_4)
	v_add_f32_e32 v86, v106, v107
	v_dual_mul_f32 v88, 0xbf2c7751, v88 :: v_dual_sub_f32 v101, v148, v101
	v_fmamk_f32 v107, v68, 0x3f6eb680, v110
	s_delay_alu instid0(VALU_DEP_4) | instskip(SKIP_1) | instid1(VALU_DEP_4)
	v_dual_add_f32 v108, v108, v152 :: v_dual_add_f32 v111, v114, v113
	v_dual_sub_f32 v103, v158, v103 :: v_dual_mul_f32 v146, 0x3ee437d1, v80
	v_fma_f32 v24, 0x3f3d2fb0, v70, -v88
	s_delay_alu instid0(VALU_DEP_3) | instskip(SKIP_1) | instid1(VALU_DEP_2)
	v_add_f32_e32 v106, v108, v109
	v_dual_add_f32 v120, v127, v128 :: v_dual_sub_f32 v99, v142, v99
	v_dual_sub_f32 v100, v146, v100 :: v_dual_add_f32 v105, v105, v106
	v_add_f32_e32 v86, v104, v86
	v_dual_add_f32 v104, v49, v107 :: v_dual_fmamk_f32 v107, v70, 0x3f3d2fb0, v88
	s_delay_alu instid0(VALU_DEP_2) | instskip(NEXT) | instid1(VALU_DEP_2)
	v_add_f32_e32 v86, v103, v86
	v_dual_add_f32 v103, v107, v104 :: v_dual_fmamk_f32 v104, v72, 0x3ee437d1, v91
	s_delay_alu instid0(VALU_DEP_1) | instskip(NEXT) | instid1(VALU_DEP_3)
	v_dual_add_f32 v103, v104, v103 :: v_dual_add_f32 v102, v102, v169
	v_dual_add_f32 v101, v101, v86 :: v_dual_fmamk_f32 v104, v74, 0x3dbcf732, v93
	s_delay_alu instid0(VALU_DEP_2) | instskip(NEXT) | instid1(VALU_DEP_2)
	v_add_f32_e32 v86, v102, v105
	v_add_f32_e32 v100, v100, v101
	s_delay_alu instid0(VALU_DEP_3) | instskip(SKIP_4) | instid1(VALU_DEP_4)
	v_add_f32_e32 v101, v104, v103
	v_fmamk_f32 v102, v76, 0xbe8c1d8e, v95
	v_fma_f32 v103, 0x3f6eb680, v67, -v79
	v_mul_f32_e32 v82, 0xbf2c7751, v82
	v_fmac_f32_e32 v79, 0x3f6eb680, v67
	v_add_f32_e32 v101, v102, v101
	s_delay_alu instid0(VALU_DEP_4) | instskip(NEXT) | instid1(VALU_DEP_4)
	v_dual_fmamk_f32 v102, v78, 0xbf1a4643, v96 :: v_dual_add_f32 v103, v48, v103
	v_fma_f32 v104, 0x3f3d2fb0, v69, -v82
	v_fmac_f32_e32 v82, 0x3f3d2fb0, v69
	s_delay_alu instid0(VALU_DEP_3) | instskip(SKIP_1) | instid1(VALU_DEP_4)
	v_add_f32_e32 v39, v102, v101
	v_fma_f32 v102, 0x3ee437d1, v71, -v83
	v_add_f32_e32 v101, v104, v103
	v_fmac_f32_e32 v83, 0x3ee437d1, v71
	s_delay_alu instid0(VALU_DEP_2) | instskip(NEXT) | instid1(VALU_DEP_1)
	v_add_f32_e32 v85, v102, v101
	v_add_f32_e32 v33, v35, v85
	v_fmamk_f32 v87, v81, 0xbf59a7d5, v38
	s_delay_alu instid0(VALU_DEP_2) | instskip(SKIP_1) | instid1(VALU_DEP_3)
	v_dual_add_f32 v85, v99, v100 :: v_dual_add_f32 v32, v34, v33
	v_mul_f32_e32 v35, 0xbf4c4adb, v89
	v_add_f32_e32 v31, v87, v39
	s_delay_alu instid0(VALU_DEP_2) | instskip(NEXT) | instid1(VALU_DEP_1)
	v_fma_f32 v33, 0xbf1a4643, v77, -v35
	v_add_f32_e32 v32, v33, v32
	v_add_f32_e32 v25, v25, v27
	v_fma_f32 v27, 0xbf59a7d5, v80, -v29
	v_fmamk_f32 v33, v90, 0xbf7ba420, v30
	s_delay_alu instid0(VALU_DEP_2) | instskip(NEXT) | instid1(VALU_DEP_4)
	v_dual_fmac_f32 v35, 0xbf1a4643, v77 :: v_dual_add_f32 v26, v27, v32
	v_add_f32_e32 v25, v25, v13
	s_delay_alu instid0(VALU_DEP_3) | instskip(SKIP_1) | instid1(VALU_DEP_3)
	v_add_f32_e32 v13, v33, v31
	v_fma_f32 v27, 0xbf7ba420, v84, -v28
	v_dual_fmac_f32 v28, 0xbf7ba420, v84 :: v_dual_add_f32 v15, v25, v15
	v_fma_f32 v25, 0x3f6eb680, v68, -v110
	s_delay_alu instid0(VALU_DEP_3) | instskip(NEXT) | instid1(VALU_DEP_3)
	v_dual_add_f32 v12, v27, v26 :: v_dual_fmac_f32 v29, 0xbf59a7d5, v80
	v_add_f32_e32 v9, v15, v9
	s_delay_alu instid0(VALU_DEP_3) | instskip(SKIP_1) | instid1(VALU_DEP_3)
	v_add_f32_e32 v15, v49, v25
	v_add_f32_e32 v25, v48, v79
	v_add_f32_e32 v9, v9, v11
	s_delay_alu instid0(VALU_DEP_3) | instskip(NEXT) | instid1(VALU_DEP_3)
	v_add_f32_e32 v11, v24, v15
	v_add_f32_e32 v15, v82, v25
	s_delay_alu instid0(VALU_DEP_3) | instskip(NEXT) | instid1(VALU_DEP_3)
	v_add_f32_e32 v5, v9, v5
	v_add_f32_e32 v9, v14, v11
	;; [unrolled: 3-line block ×7, first 2 shown]
	v_add3_u32 v6, 0, v2, v62
	s_delay_alu instid0(VALU_DEP_3) | instskip(SKIP_1) | instid1(VALU_DEP_4)
	v_add_f32_e32 v3, v4, v3
	v_fma_f32 v4, 0xbf7ba420, v90, -v30
	v_add_f32_e32 v5, v29, v5
	s_delay_alu instid0(VALU_DEP_2) | instskip(NEXT) | instid1(VALU_DEP_2)
	v_add_f32_e32 v3, v4, v3
	v_add_f32_e32 v2, v28, v5
	ds_store_2addr_b64 v6, v[0:1], v[12:13] offset1:1
	ds_store_2addr_b64 v6, v[85:86], v[111:112] offset0:2 offset1:3
	ds_store_2addr_b64 v6, v[120:121], v[143:144] offset0:4 offset1:5
	ds_store_2addr_b64 v6, v[160:161], v[58:59] offset0:6 offset1:7
	ds_store_2addr_b64 v6, v[56:57], v[54:55] offset0:8 offset1:9
	ds_store_2addr_b64 v6, v[52:53], v[50:51] offset0:10 offset1:11
	ds_store_2addr_b64 v6, v[16:17], v[18:19] offset0:12 offset1:13
	ds_store_2addr_b64 v6, v[20:21], v[22:23] offset0:14 offset1:15
	ds_store_b64 v6, v[2:3] offset:128
.LBB0_20:
	s_wait_alu 0xfffe
	s_or_b32 exec_lo, exec_lo, s1
	v_add_nc_u32_e32 v0, 0x400, v43
	global_wb scope:SCOPE_SE
	s_wait_dscnt 0x0
	s_barrier_signal -1
	s_barrier_wait -1
	global_inv scope:SCOPE_SE
	ds_load_2addr_b64 v[8:11], v0 offset0:110 offset1:178
	ds_load_2addr_b64 v[4:7], v66 offset0:118 offset1:220
	;; [unrolled: 1-line block ×5, first 2 shown]
	ds_load_b64 v[28:29], v61
	ds_load_b64 v[30:31], v43 offset:6800
	v_cmp_gt_u32_e64 s0, 34, v42
	s_delay_alu instid0(VALU_DEP_1)
	s_and_saveexec_b32 s1, s0
	s_cbranch_execz .LBB0_22
; %bb.21:
	v_add_nc_u32_e32 v16, 0x600, v43
	v_add_nc_u32_e32 v20, 0x1500, v43
	ds_load_2addr_b64 v[16:19], v16 offset0:12 offset1:250
	ds_load_2addr_b64 v[20:23], v20 offset0:8 offset1:246
.LBB0_22:
	s_wait_alu 0xfffe
	s_or_b32 exec_lo, exec_lo, s1
	v_and_b32_e32 v32, 0xff, v42
	v_add_nc_u16 v33, v42, 0x44
	s_delay_alu instid0(VALU_DEP_2) | instskip(NEXT) | instid1(VALU_DEP_2)
	v_mul_lo_u16 v32, 0xf1, v32
	v_and_b32_e32 v34, 0xff, v33
	s_delay_alu instid0(VALU_DEP_2) | instskip(SKIP_1) | instid1(VALU_DEP_3)
	v_lshrrev_b16 v35, 12, v32
	v_add_nc_u16 v32, v42, 0x88
	v_mul_lo_u16 v37, 0xf1, v34
	s_delay_alu instid0(VALU_DEP_3) | instskip(NEXT) | instid1(VALU_DEP_3)
	v_mul_lo_u16 v36, v35, 17
	v_and_b32_e32 v34, 0xff, v32
	s_delay_alu instid0(VALU_DEP_3) | instskip(NEXT) | instid1(VALU_DEP_3)
	v_lshrrev_b16 v66, 12, v37
	v_sub_nc_u16 v36, v42, v36
	s_delay_alu instid0(VALU_DEP_3) | instskip(NEXT) | instid1(VALU_DEP_2)
	v_mul_lo_u16 v37, 0xf1, v34
	v_and_b32_e32 v67, 0xff, v36
	s_delay_alu instid0(VALU_DEP_4) | instskip(NEXT) | instid1(VALU_DEP_3)
	v_mul_lo_u16 v36, v66, 17
	v_lshrrev_b16 v68, 12, v37
	s_delay_alu instid0(VALU_DEP_3) | instskip(NEXT) | instid1(VALU_DEP_3)
	v_mul_u32_u24_e32 v37, 3, v67
	v_sub_nc_u16 v33, v33, v36
	s_delay_alu instid0(VALU_DEP_3) | instskip(NEXT) | instid1(VALU_DEP_3)
	v_mul_lo_u16 v36, v68, 17
	v_lshlrev_b32_e32 v48, 3, v37
	s_delay_alu instid0(VALU_DEP_3) | instskip(NEXT) | instid1(VALU_DEP_3)
	v_and_b32_e32 v69, 0xff, v33
	v_sub_nc_u16 v33, v32, v36
	s_clause 0x1
	global_load_b128 v[36:39], v48, s[8:9]
	global_load_b64 v[56:57], v48, s[8:9] offset:16
	v_and_b32_e32 v70, 0xff, v33
	v_mul_u32_u24_e32 v49, 3, v69
	v_and_b32_e32 v68, 0xffff, v68
	v_and_b32_e32 v66, 0xffff, v66
	s_delay_alu instid0(VALU_DEP_4) | instskip(NEXT) | instid1(VALU_DEP_4)
	v_mul_u32_u24_e32 v52, 3, v70
	v_lshlrev_b32_e32 v33, 3, v49
	s_delay_alu instid0(VALU_DEP_4) | instskip(NEXT) | instid1(VALU_DEP_4)
	v_mad_u32_u24 v68, 0x220, v68, 0
	v_mad_u32_u24 v66, 0x220, v66, 0
	s_delay_alu instid0(VALU_DEP_4)
	v_lshlrev_b32_e32 v64, 3, v52
	s_clause 0x3
	global_load_b128 v[48:51], v33, s[8:9]
	global_load_b64 v[58:59], v33, s[8:9] offset:16
	global_load_b128 v[52:55], v64, s[8:9]
	global_load_b64 v[64:65], v64, s[8:9] offset:16
	v_lshlrev_b32_e32 v70, 3, v70
	v_add_nc_u32_e32 v33, 0xcc, v42
	v_and_b32_e32 v35, 0xffff, v35
	global_wb scope:SCOPE_SE
	s_wait_loadcnt_dscnt 0x0
	s_barrier_signal -1
	v_add3_u32 v68, v68, v70, v62
	s_barrier_wait -1
	v_mad_u32_u24 v72, 0x220, v35, 0
	global_inv scope:SCOPE_SE
	v_mul_f32_e32 v70, v39, v7
	v_mul_f32_e32 v39, v39, v6
	s_delay_alu instid0(VALU_DEP_2) | instskip(NEXT) | instid1(VALU_DEP_2)
	v_fma_f32 v6, v38, v6, -v70
	v_fmac_f32_e32 v39, v38, v7
	v_lshlrev_b32_e32 v67, 3, v67
	v_dual_mul_f32 v38, v59, v15 :: v_dual_and_b32 v71, 0xffff, v33
	s_delay_alu instid0(VALU_DEP_1) | instskip(SKIP_2) | instid1(VALU_DEP_2)
	v_mul_u32_u24_e32 v35, 0xf0f1, v71
	v_mul_f32_e32 v71, v57, v13
	v_mul_f32_e32 v57, v57, v12
	v_fma_f32 v7, v56, v12, -v71
	v_dual_mul_f32 v12, v49, v10 :: v_dual_lshlrev_b32 v69, 3, v69
	s_delay_alu instid0(VALU_DEP_3) | instskip(NEXT) | instid1(VALU_DEP_2)
	v_dual_fmac_f32 v57, v56, v13 :: v_dual_mul_f32 v56, v55, v27
	v_dual_mul_f32 v13, v51, v25 :: v_dual_fmac_f32 v12, v48, v11
	s_delay_alu instid0(VALU_DEP_3) | instskip(SKIP_3) | instid1(VALU_DEP_3)
	v_add3_u32 v66, v66, v69, v62
	v_mul_f32_e32 v69, v37, v9
	v_mul_f32_e32 v37, v37, v8
	v_mul_f32_e32 v55, v55, v26
	v_fma_f32 v8, v36, v8, -v69
	s_delay_alu instid0(VALU_DEP_3) | instskip(SKIP_1) | instid1(VALU_DEP_4)
	v_dual_fmac_f32 v37, v36, v9 :: v_dual_mul_f32 v36, v51, v24
	v_mul_f32_e32 v9, v49, v11
	v_fmac_f32_e32 v55, v54, v27
	v_mul_f32_e32 v51, v53, v5
	s_delay_alu instid0(VALU_DEP_4)
	v_dual_mul_f32 v49, v59, v14 :: v_dual_fmac_f32 v36, v50, v25
	v_sub_f32_e32 v25, v29, v39
	v_fma_f32 v10, v48, v10, -v9
	v_fma_f32 v9, v50, v24, -v13
	v_mul_f32_e32 v53, v53, v4
	v_fma_f32 v11, v58, v14, -v38
	v_sub_f32_e32 v24, v28, v6
	v_fma_f32 v27, v29, 2.0, -v25
	v_dual_sub_f32 v29, v1, v36 :: v_dual_sub_f32 v36, v3, v55
	v_fma_f32 v13, v52, v4, -v51
	v_sub_f32_e32 v4, v37, v57
	v_fma_f32 v14, v54, v26, -v56
	v_fma_f32 v26, v28, 2.0, -v24
	v_sub_f32_e32 v28, v0, v9
	v_fmac_f32_e32 v53, v52, v5
	v_sub_f32_e32 v5, v8, v7
	v_fma_f32 v7, v37, 2.0, -v4
	v_dual_sub_f32 v4, v24, v4 :: v_dual_sub_f32 v11, v10, v11
	v_mul_f32_e32 v59, v31, v65
	s_delay_alu instid0(VALU_DEP_4) | instskip(SKIP_1) | instid1(VALU_DEP_4)
	v_fma_f32 v6, v8, 2.0, -v5
	v_fma_f32 v37, v0, 2.0, -v28
	;; [unrolled: 1-line block ×4, first 2 shown]
	v_fmac_f32_e32 v49, v58, v15
	v_mul_f32_e32 v65, v30, v65
	v_fma_f32 v15, v30, v64, -v59
	v_sub_f32_e32 v6, v26, v6
	v_fma_f32 v38, v1, 2.0, -v29
	v_sub_f32_e32 v30, v12, v49
	v_fma_f32 v39, v3, 2.0, -v36
	v_sub_f32_e32 v7, v27, v7
	v_add_f32_e32 v1, v29, v11
	v_add3_u32 v67, v72, v67, v62
	v_dual_sub_f32 v0, v28, v30 :: v_dual_fmac_f32 v65, v31, v64
	v_dual_sub_f32 v31, v2, v14 :: v_dual_sub_f32 v14, v13, v15
	v_fma_f32 v10, v26, 2.0, -v6
	v_fma_f32 v11, v27, 2.0, -v7
	s_delay_alu instid0(VALU_DEP_4)
	v_sub_f32_e32 v15, v53, v65
	v_add_f32_e32 v5, v25, v5
	v_fma_f32 v48, v13, 2.0, -v14
	v_add_f32_e32 v3, v36, v14
	v_fma_f32 v14, v28, 2.0, -v0
	v_fma_f32 v49, v53, 2.0, -v15
	;; [unrolled: 1-line block ×5, first 2 shown]
	v_sub_f32_e32 v2, v31, v15
	v_sub_f32_e32 v12, v37, v24
	v_fma_f32 v15, v29, 2.0, -v1
	v_sub_f32_e32 v13, v38, v25
	v_dual_sub_f32 v24, v30, v48 :: v_dual_sub_f32 v25, v39, v49
	s_delay_alu instid0(VALU_DEP_4) | instskip(SKIP_1) | instid1(VALU_DEP_4)
	v_fma_f32 v28, v37, 2.0, -v12
	v_fma_f32 v26, v31, 2.0, -v2
	;; [unrolled: 1-line block ×6, first 2 shown]
	ds_store_2addr_b64 v67, v[6:7], v[4:5] offset0:34 offset1:51
	ds_store_2addr_b64 v67, v[10:11], v[8:9] offset1:17
	ds_store_2addr_b64 v66, v[12:13], v[0:1] offset0:34 offset1:51
	ds_store_2addr_b64 v66, v[28:29], v[14:15] offset1:17
	ds_store_2addr_b64 v68, v[30:31], v[26:27] offset1:17
	ds_store_2addr_b64 v68, v[24:25], v[2:3] offset0:34 offset1:51
	s_and_saveexec_b32 s1, s0
	s_cbranch_execz .LBB0_24
; %bb.23:
	v_lshrrev_b32_e32 v0, 20, v35
	s_delay_alu instid0(VALU_DEP_1) | instskip(NEXT) | instid1(VALU_DEP_1)
	v_mul_lo_u16 v0, v0, 17
	v_sub_nc_u16 v0, v33, v0
	s_delay_alu instid0(VALU_DEP_1) | instskip(NEXT) | instid1(VALU_DEP_1)
	v_and_b32_e32 v6, 0xffff, v0
	v_mul_u32_u24_e32 v0, 3, v6
	s_delay_alu instid0(VALU_DEP_1)
	v_lshlrev_b32_e32 v4, 3, v0
	s_clause 0x1
	global_load_b128 v[0:3], v4, s[8:9]
	global_load_b64 v[4:5], v4, s[8:9] offset:16
	s_wait_loadcnt 0x1
	v_dual_mul_f32 v8, v20, v3 :: v_dual_and_b32 v7, 0xff, v33
	s_delay_alu instid0(VALU_DEP_1)
	v_mul_lo_u16 v7, 0xf1, v7
	v_mul_f32_e32 v9, v19, v1
	s_wait_loadcnt 0x0
	v_dual_mul_f32 v10, v23, v5 :: v_dual_mul_f32 v3, v21, v3
	v_mul_f32_e32 v1, v18, v1
	v_dual_mul_f32 v5, v22, v5 :: v_dual_fmac_f32 v8, v21, v2
	v_lshrrev_b16 v7, 12, v7
	v_fma_f32 v9, v18, v0, -v9
	s_delay_alu instid0(VALU_DEP_4) | instskip(NEXT) | instid1(VALU_DEP_4)
	v_fmac_f32_e32 v1, v19, v0
	v_dual_fmac_f32 v5, v23, v4 :: v_dual_lshlrev_b32 v6, 3, v6
	v_fma_f32 v0, v20, v2, -v3
	v_fma_f32 v2, v22, v4, -v10
	v_dual_sub_f32 v4, v17, v8 :: v_dual_and_b32 v3, 0xffff, v7
	s_delay_alu instid0(VALU_DEP_2) | instskip(SKIP_1) | instid1(VALU_DEP_3)
	v_dual_sub_f32 v7, v16, v0 :: v_dual_sub_f32 v0, v9, v2
	v_sub_f32_e32 v5, v1, v5
	v_fma_f32 v10, v17, 2.0, -v4
	s_delay_alu instid0(VALU_DEP_4) | instskip(NEXT) | instid1(VALU_DEP_4)
	v_mad_u32_u24 v8, 0x220, v3, 0
	v_fma_f32 v11, v16, 2.0, -v7
	v_fma_f32 v9, v9, 2.0, -v0
	v_fma_f32 v2, v1, 2.0, -v5
	s_delay_alu instid0(VALU_DEP_4) | instskip(NEXT) | instid1(VALU_DEP_2)
	v_add3_u32 v8, v8, v6, v62
	v_dual_sub_f32 v3, v10, v2 :: v_dual_sub_f32 v2, v11, v9
	v_dual_add_f32 v1, v4, v0 :: v_dual_sub_f32 v0, v7, v5
	s_delay_alu instid0(VALU_DEP_2) | instskip(NEXT) | instid1(VALU_DEP_2)
	v_fma_f32 v6, v11, 2.0, -v2
	v_fma_f32 v5, v4, 2.0, -v1
	s_delay_alu instid0(VALU_DEP_3)
	v_fma_f32 v4, v7, 2.0, -v0
	v_fma_f32 v7, v10, 2.0, -v3
	ds_store_2addr_b64 v8, v[6:7], v[4:5] offset1:17
	ds_store_2addr_b64 v8, v[2:3], v[0:1] offset0:34 offset1:51
.LBB0_24:
	s_wait_alu 0xfffe
	s_or_b32 exec_lo, exec_lo, s1
	v_mul_lo_u16 v5, 0x79, v34
	v_add_co_u32 v0, s0, s8, v46
	s_wait_alu 0xf1ff
	v_add_co_ci_u32_e64 v1, s0, s9, v47, s0
	s_delay_alu instid0(VALU_DEP_3)
	v_lshrrev_b16 v5, 13, v5
	global_wb scope:SCOPE_SE
	s_wait_dscnt 0x0
	s_barrier_signal -1
	s_barrier_wait -1
	global_inv scope:SCOPE_SE
	global_load_b64 v[27:28], v[0:1], off offset:408
	v_add_nc_u32_e32 v2, 0x110, v42
	v_mul_lo_u16 v1, 0x44, v5
	v_add_nc_u32_e32 v3, 0x154, v42
	v_add_nc_u32_e32 v4, 0x198, v42
	v_lshrrev_b32_e32 v7, 22, v35
	v_and_b32_e32 v6, 0xffff, v2
	v_sub_nc_u16 v1, v32, v1
	v_and_b32_e32 v8, 0xffff, v3
	v_and_b32_e32 v9, 0xffff, v4
	v_mul_u32_u24_e32 v54, 6, v42
	v_mul_u32_u24_e32 v0, 0xf0f1, v6
	v_mul_lo_u16 v6, 0x44, v7
	v_and_b32_e32 v1, 0xff, v1
	v_mul_u32_u24_e32 v5, 0xf0f1, v8
	v_mul_u32_u24_e32 v7, 0xf0f1, v9
	v_lshrrev_b32_e32 v0, 22, v0
	v_sub_nc_u16 v6, v33, v6
	v_lshlrev_b32_e32 v19, 3, v1
	v_lshrrev_b32_e32 v5, 22, v5
	v_lshrrev_b32_e32 v7, 22, v7
	v_mul_lo_u16 v0, 0x44, v0
	global_load_b64 v[29:30], v19, s[8:9] offset:408
	v_and_b32_e32 v6, 0xffff, v6
	v_mul_lo_u16 v5, 0x44, v5
	v_mul_lo_u16 v7, 0x44, v7
	v_sub_nc_u16 v0, v2, v0
	s_delay_alu instid0(VALU_DEP_4) | instskip(NEXT) | instid1(VALU_DEP_4)
	v_lshlrev_b32_e32 v20, 3, v6
	v_sub_nc_u16 v1, v3, v5
	s_delay_alu instid0(VALU_DEP_4)
	v_sub_nc_u16 v2, v4, v7
	global_load_b64 v[31:32], v20, s[8:9] offset:408
	v_and_b32_e32 v0, 0xffff, v0
	v_and_b32_e32 v1, 0xffff, v1
	;; [unrolled: 1-line block ×3, first 2 shown]
	v_add3_u32 v55, 0, v20, v62
	s_delay_alu instid0(VALU_DEP_4) | instskip(NEXT) | instid1(VALU_DEP_4)
	v_lshlrev_b32_e32 v39, 3, v0
	v_lshlrev_b32_e32 v50, 3, v1
	s_delay_alu instid0(VALU_DEP_4)
	v_lshlrev_b32_e32 v51, 3, v2
	s_clause 0x2
	global_load_b64 v[33:34], v39, s[8:9] offset:408
	global_load_b64 v[35:36], v50, s[8:9] offset:408
	;; [unrolled: 1-line block ×3, first 2 shown]
	v_add_nc_u32_e32 v0, 0xc00, v43
	ds_load_2addr_b64 v[3:6], v43 offset0:68 offset1:136
	v_add_nc_u32_e32 v1, 0x400, v43
	ds_load_2addr_b64 v[7:10], v0 offset0:92 offset1:160
	ds_load_b64 v[46:47], v61
	ds_load_b64 v[48:49], v43 offset:7072
	v_add_nc_u32_e32 v52, 0x1000, v43
	v_add_nc_u32_e32 v2, 0x1400, v43
	ds_load_2addr_b64 v[11:14], v52 offset0:100 offset1:168
	ds_load_2addr_b64 v[15:18], v1 offset0:76 offset1:144
	v_add_nc_u32_e32 v53, 0x800, v43
	s_wait_loadcnt_dscnt 0x504
	v_mul_f32_e32 v58, v28, v7
	v_mul_f32_e32 v57, v28, v8
	;; [unrolled: 1-line block ×4, first 2 shown]
	v_add3_u32 v39, 0, v39, v62
	v_fmac_f32_e32 v58, v27, v8
	v_fma_f32 v7, v27, v7, -v57
	v_fma_f32 v9, v27, v9, -v59
	v_fmac_f32_e32 v28, v27, v10
	s_wait_dscnt 0x3
	v_sub_f32_e32 v8, v47, v58
	v_add3_u32 v56, 0, v19, v62
	ds_load_2addr_b64 v[19:22], v2 offset0:108 offset1:176
	ds_load_2addr_b64 v[23:26], v53 offset0:84 offset1:152
	v_sub_f32_e32 v7, v46, v7
	v_dual_sub_f32 v9, v3, v9 :: v_dual_sub_f32 v10, v4, v28
	v_fma_f32 v28, v47, 2.0, -v8
	global_wb scope:SCOPE_SE
	s_wait_loadcnt_dscnt 0x0
	v_fma_f32 v27, v46, 2.0, -v7
	s_barrier_signal -1
	s_barrier_wait -1
	global_inv scope:SCOPE_SE
	v_fma_f32 v3, v3, 2.0, -v9
	v_fma_f32 v4, v4, 2.0, -v10
	ds_store_2addr_b64 v43, v[27:28], v[7:8] offset1:68
	v_mul_f32_e32 v8, v30, v11
	v_add3_u32 v51, 0, v51, v62
	v_mul_f32_e32 v7, v30, v12
	v_add_nc_u32_e32 v39, 0x1000, v39
	ds_store_2addr_b64 v43, v[3:4], v[9:10] offset0:136 offset1:204
	v_dual_fmac_f32 v8, v29, v12 :: v_dual_add_nc_u32 v47, 0x1800, v51
	v_fma_f32 v3, v29, v11, -v7
	v_mul_f32_e32 v28, v32, v13
	v_mul_f32_e32 v27, v32, v14
	s_delay_alu instid0(VALU_DEP_4) | instskip(NEXT) | instid1(VALU_DEP_3)
	v_dual_sub_f32 v4, v6, v8 :: v_dual_add_nc_u32 v55, 0x800, v55
	v_dual_sub_f32 v3, v5, v3 :: v_dual_fmac_f32 v28, v31, v14
	s_delay_alu instid0(VALU_DEP_3) | instskip(NEXT) | instid1(VALU_DEP_3)
	v_fma_f32 v7, v31, v13, -v27
	v_fma_f32 v6, v6, 2.0, -v4
	v_mul_f32_e32 v9, v20, v34
	v_mul_f32_e32 v12, v19, v34
	;; [unrolled: 1-line block ×6, first 2 shown]
	v_fma_f32 v13, v19, v33, -v9
	v_fmac_f32_e32 v12, v20, v33
	v_fma_f32 v19, v21, v35, -v10
	v_fmac_f32_e32 v14, v22, v35
	v_add3_u32 v50, 0, v50, v62
	v_dual_sub_f32 v7, v15, v7 :: v_dual_sub_f32 v8, v16, v28
	v_fma_f32 v20, v48, v37, -v11
	v_dual_fmac_f32 v27, v49, v37 :: v_dual_lshlrev_b32 v54, 3, v54
	v_dual_sub_f32 v11, v17, v13 :: v_dual_sub_f32 v12, v18, v12
	v_dual_sub_f32 v13, v23, v19 :: v_dual_add_nc_u32 v56, 0x800, v56
	v_sub_f32_e32 v14, v24, v14
	v_add_nc_u32_e32 v46, 0x1000, v50
	v_fma_f32 v9, v15, 2.0, -v7
	v_sub_f32_e32 v15, v25, v20
	v_fma_f32 v10, v16, 2.0, -v8
	v_sub_f32_e32 v16, v26, v27
	v_fma_f32 v5, v5, 2.0, -v3
	v_fma_f32 v17, v17, 2.0, -v11
	;; [unrolled: 1-line block ×7, first 2 shown]
	ds_store_2addr_b64 v56, v[5:6], v[3:4] offset0:16 offset1:84
	ds_store_2addr_b64 v55, v[9:10], v[7:8] offset0:152 offset1:220
	;; [unrolled: 1-line block ×5, first 2 shown]
	global_wb scope:SCOPE_SE
	s_wait_dscnt 0x0
	s_barrier_signal -1
	s_barrier_wait -1
	global_inv scope:SCOPE_SE
	s_clause 0x5
	global_load_b128 v[3:6], v54, s[8:9] offset:952
	global_load_b128 v[7:10], v54, s[8:9] offset:968
	;; [unrolled: 1-line block ×6, first 2 shown]
	ds_load_2addr_b64 v[27:30], v43 offset0:68 offset1:136
	ds_load_2addr_b64 v[31:34], v1 offset0:76 offset1:144
	;; [unrolled: 1-line block ×6, first 2 shown]
	v_add_nc_u32_e32 v39, v63, v62
	ds_load_b64 v[58:59], v61
	ds_load_b64 v[61:62], v43 offset:7072
	global_wb scope:SCOPE_SE
	s_wait_loadcnt_dscnt 0x0
	s_barrier_signal -1
	s_barrier_wait -1
	v_add_nc_u32_e32 v64, 0xc00, v39
	global_inv scope:SCOPE_SE
	v_add_nc_u32_e32 v63, 0x400, v39
	v_add_nc_u32_e32 v39, 0x1400, v39
	v_mul_f32_e32 v65, v4, v30
	v_mul_f32_e32 v4, v4, v29
	;; [unrolled: 1-line block ×5, first 2 shown]
	v_fma_f32 v29, v3, v29, -v65
	v_mul_f32_e32 v66, v6, v34
	v_mul_f32_e32 v6, v6, v33
	v_fmac_f32_e32 v4, v3, v30
	v_mul_f32_e32 v73, v47, v20
	v_mul_f32_e32 v20, v46, v20
	v_fma_f32 v3, v5, v33, -v66
	v_fmac_f32_e32 v6, v5, v34
	v_fma_f32 v5, v7, v37, -v67
	v_mul_f32_e32 v12, v12, v52
	v_mul_f32_e32 v10, v10, v48
	;; [unrolled: 1-line block ×5, first 2 shown]
	v_fmac_f32_e32 v12, v11, v53
	v_mul_f32_e32 v8, v8, v37
	v_dual_fmac_f32 v10, v9, v49 :: v_dual_mul_f32 v75, v55, v24
	v_mul_f32_e32 v24, v54, v24
	v_fmac_f32_e32 v20, v47, v19
	s_delay_alu instid0(VALU_DEP_4)
	v_fmac_f32_e32 v8, v7, v38
	v_mul_f32_e32 v70, v57, v14
	v_mul_f32_e32 v14, v56, v14
	v_fma_f32 v7, v9, v48, -v68
	v_fma_f32 v9, v11, v52, -v69
	v_fmac_f32_e32 v16, v32, v15
	v_fmac_f32_e32 v24, v55, v23
	;; [unrolled: 1-line block ×3, first 2 shown]
	s_delay_alu instid0(VALU_DEP_1)
	v_add_f32_e32 v30, v4, v14
	v_sub_f32_e32 v4, v4, v14
	v_add_f32_e32 v14, v3, v9
	v_mul_f32_e32 v74, v51, v22
	v_sub_f32_e32 v3, v3, v9
	v_dual_add_f32 v9, v5, v7 :: v_dual_mul_f32 v22, v50, v22
	v_dual_sub_f32 v5, v7, v5 :: v_dual_mul_f32 v76, v62, v26
	v_dual_mul_f32 v26, v61, v26 :: v_dual_sub_f32 v7, v10, v8
	v_fma_f32 v11, v56, v13, -v70
	s_delay_alu instid0(VALU_DEP_4) | instskip(SKIP_4) | instid1(VALU_DEP_4)
	v_fmac_f32_e32 v22, v51, v21
	v_mul_f32_e32 v18, v35, v18
	v_fma_f32 v13, v31, v15, -v71
	v_fma_f32 v15, v35, v17, -v72
	v_dual_fmac_f32 v26, v62, v25 :: v_dual_add_f32 v33, v5, v3
	v_fmac_f32_e32 v18, v36, v17
	v_fma_f32 v17, v46, v19, -v73
	v_fma_f32 v19, v50, v21, -v74
	;; [unrolled: 1-line block ×4, first 2 shown]
	v_add_f32_e32 v25, v29, v11
	v_sub_f32_e32 v11, v29, v11
	v_add_f32_e32 v29, v6, v12
	v_dual_sub_f32 v6, v6, v12 :: v_dual_sub_f32 v35, v5, v3
	s_delay_alu instid0(VALU_DEP_4) | instskip(NEXT) | instid1(VALU_DEP_4)
	v_sub_f32_e32 v31, v14, v25
	v_dual_sub_f32 v37, v3, v11 :: v_dual_add_f32 v12, v8, v10
	v_add_f32_e32 v8, v13, v23
	v_sub_f32_e32 v13, v13, v23
	v_add_f32_e32 v23, v15, v21
	v_sub_f32_e32 v15, v15, v21
	;; [unrolled: 2-line block ×3, first 2 shown]
	v_sub_f32_e32 v5, v11, v5
	v_add_f32_e32 v11, v33, v11
	s_delay_alu instid0(VALU_DEP_3)
	v_add_f32_e32 v48, v17, v15
	v_sub_f32_e32 v50, v17, v15
	v_sub_f32_e32 v17, v13, v17
	;; [unrolled: 1-line block ×3, first 2 shown]
	v_dual_sub_f32 v15, v15, v13 :: v_dual_add_f32 v10, v16, v26
	v_sub_f32_e32 v16, v16, v26
	v_add_f32_e32 v26, v18, v24
	v_dual_sub_f32 v18, v18, v24 :: v_dual_add_f32 v13, v48, v13
	v_add_f32_e32 v3, v23, v8
	v_sub_f32_e32 v46, v23, v8
	s_delay_alu instid0(VALU_DEP_3)
	v_dual_sub_f32 v8, v8, v21 :: v_dual_add_f32 v49, v19, v18
	v_sub_f32_e32 v51, v19, v18
	v_sub_f32_e32 v19, v16, v19
	v_add_f32_e32 v24, v20, v22
	v_add_f32_e32 v20, v14, v25
	v_sub_f32_e32 v32, v29, v30
	v_sub_f32_e32 v25, v25, v9
	;; [unrolled: 1-line block ×4, first 2 shown]
	v_add_f32_e32 v9, v9, v20
	v_dual_add_f32 v21, v21, v3 :: v_dual_mul_f32 v8, 0x3f4a47b2, v8
	v_dual_add_f32 v22, v29, v30 :: v_dual_sub_f32 v29, v12, v29
	s_delay_alu instid0(VALU_DEP_3) | instskip(NEXT) | instid1(VALU_DEP_2)
	v_dual_add_f32 v3, v9, v58 :: v_dual_sub_f32 v30, v30, v12
	v_dual_add_f32 v12, v12, v22 :: v_dual_mul_f32 v33, 0x3d64c772, v29
	s_delay_alu instid0(VALU_DEP_2) | instskip(NEXT) | instid1(VALU_DEP_2)
	v_dual_add_f32 v34, v7, v6 :: v_dual_fmamk_f32 v9, v9, 0xbf955555, v3
	v_fma_f32 v33, 0x3f3bfb3b, v32, -v33
	s_delay_alu instid0(VALU_DEP_2) | instskip(SKIP_3) | instid1(VALU_DEP_3)
	v_add_f32_e32 v20, v34, v4
	v_sub_f32_e32 v36, v7, v6
	v_dual_mul_f32 v22, 0x3f4a47b2, v25 :: v_dual_mul_f32 v25, 0x3f4a47b2, v30
	v_mul_f32_e32 v30, 0x3d64c772, v14
	v_dual_mul_f32 v34, 0xbf08b237, v35 :: v_dual_mul_f32 v35, 0xbf08b237, v36
	v_mul_f32_e32 v36, 0x3f5ff5aa, v37
	s_delay_alu instid0(VALU_DEP_4) | instskip(NEXT) | instid1(VALU_DEP_4)
	v_fmamk_f32 v14, v14, 0x3d64c772, v22
	v_fma_f32 v30, 0x3f3bfb3b, v31, -v30
	v_fma_f32 v22, 0xbf3bfb3b, v31, -v22
	v_fmamk_f32 v31, v5, 0x3eae86e6, v34
	v_fma_f32 v34, 0x3f5ff5aa, v37, -v34
	v_fma_f32 v36, 0xbeae86e6, v5, -v36
	v_dual_add_f32 v5, v21, v27 :: v_dual_sub_f32 v6, v6, v4
	v_sub_f32_e32 v7, v4, v7
	v_fmac_f32_e32 v31, 0x3ee1c552, v11
	v_fmac_f32_e32 v34, 0x3ee1c552, v11
	;; [unrolled: 1-line block ×3, first 2 shown]
	v_fmamk_f32 v11, v21, 0xbf955555, v5
	v_mul_f32_e32 v52, 0x3f5ff5aa, v6
	v_dual_fmamk_f32 v29, v29, 0x3d64c772, v25 :: v_dual_sub_f32 v18, v18, v16
	v_dual_add_f32 v16, v49, v16 :: v_dual_mul_f32 v49, 0xbf08b237, v50
	v_mul_f32_e32 v50, 0xbf08b237, v51
	v_mul_f32_e32 v51, 0x3f5ff5aa, v15
	v_sub_f32_e32 v47, v26, v10
	v_fma_f32 v25, 0xbf3bfb3b, v32, -v25
	v_fmamk_f32 v32, v7, 0x3eae86e6, v35
	v_fma_f32 v37, 0xbeae86e6, v7, -v52
	v_dual_add_f32 v38, v26, v10 :: v_dual_fmamk_f32 v7, v23, 0x3d64c772, v8
	v_sub_f32_e32 v10, v10, v24
	s_delay_alu instid0(VALU_DEP_3) | instskip(NEXT) | instid1(VALU_DEP_3)
	v_dual_sub_f32 v26, v24, v26 :: v_dual_fmac_f32 v37, 0x3ee1c552, v20
	v_add_f32_e32 v24, v24, v38
	v_mul_f32_e32 v38, 0x3d64c772, v23
	s_delay_alu instid0(VALU_DEP_4) | instskip(NEXT) | instid1(VALU_DEP_4)
	v_mul_f32_e32 v10, 0x3f4a47b2, v10
	v_mul_f32_e32 v48, 0x3d64c772, v26
	v_fma_f32 v35, 0x3f5ff5aa, v6, -v35
	v_add_f32_e32 v6, v24, v28
	v_fma_f32 v8, 0xbf3bfb3b, v46, -v8
	v_fmamk_f32 v23, v26, 0x3d64c772, v10
	v_fma_f32 v26, 0x3f3bfb3b, v46, -v38
	v_fma_f32 v27, 0x3f3bfb3b, v47, -v48
	v_fmamk_f32 v28, v17, 0x3eae86e6, v49
	v_fma_f32 v46, 0x3f5ff5aa, v15, -v49
	v_fma_f32 v48, 0xbeae86e6, v17, -v51
	v_add_f32_e32 v21, v26, v11
	v_add_f32_e32 v4, v12, v59
	v_fmamk_f32 v15, v24, 0xbf955555, v6
	v_fmamk_f32 v38, v19, 0x3eae86e6, v50
	v_fmac_f32_e32 v28, 0x3ee1c552, v13
	v_fmac_f32_e32 v46, 0x3ee1c552, v13
	v_fmamk_f32 v12, v12, 0xbf955555, v4
	v_fmac_f32_e32 v48, 0x3ee1c552, v13
	v_add_f32_e32 v13, v14, v9
	v_fma_f32 v10, 0xbf3bfb3b, v47, -v10
	v_fmac_f32_e32 v38, 0x3ee1c552, v16
	v_dual_add_f32 v14, v29, v12 :: v_dual_add_f32 v29, v23, v15
	v_mul_f32_e32 v53, 0x3f5ff5aa, v18
	v_fma_f32 v47, 0x3f5ff5aa, v18, -v50
	v_add_f32_e32 v17, v33, v12
	v_dual_add_f32 v12, v25, v12 :: v_dual_add_f32 v25, v7, v11
	s_delay_alu instid0(VALU_DEP_4)
	v_fma_f32 v49, 0xbeae86e6, v19, -v53
	v_dual_add_f32 v18, v22, v9 :: v_dual_add_f32 v23, v8, v11
	v_fmac_f32_e32 v32, 0x3ee1c552, v20
	v_dual_fmac_f32 v35, 0x3ee1c552, v20 :: v_dual_add_f32 v22, v27, v15
	v_add_f32_e32 v24, v10, v15
	v_add_f32_e32 v15, v38, v25
	v_fmac_f32_e32 v47, 0x3ee1c552, v16
	v_dual_fmac_f32 v49, 0x3ee1c552, v16 :: v_dual_add_f32 v16, v30, v9
	ds_store_2addr_b64 v43, v[3:4], v[5:6] offset1:68
	v_dual_add_f32 v3, v32, v13 :: v_dual_sub_f32 v4, v14, v31
	v_dual_add_f32 v5, v37, v18 :: v_dual_sub_f32 v6, v12, v36
	v_dual_sub_f32 v7, v16, v35 :: v_dual_add_f32 v8, v34, v17
	v_dual_add_f32 v9, v35, v16 :: v_dual_sub_f32 v10, v17, v34
	v_dual_sub_f32 v11, v18, v37 :: v_dual_add_f32 v12, v36, v12
	v_dual_sub_f32 v13, v13, v32 :: v_dual_add_f32 v14, v31, v14
	v_sub_f32_e32 v16, v29, v28
	v_add_f32_e32 v17, v49, v23
	v_dual_sub_f32 v23, v23, v49 :: v_dual_sub_f32 v18, v24, v48
	v_dual_sub_f32 v19, v21, v47 :: v_dual_add_f32 v20, v46, v22
	v_dual_add_f32 v21, v47, v21 :: v_dual_sub_f32 v22, v22, v46
	v_dual_add_f32 v24, v48, v24 :: v_dual_sub_f32 v25, v25, v38
	v_add_f32_e32 v26, v28, v29
	ds_store_2addr_b64 v1, v[3:4], v[5:6] offset0:8 offset1:144
	ds_store_2addr_b64 v0, v[7:8], v[9:10] offset0:24 offset1:160
	;; [unrolled: 1-line block ×6, first 2 shown]
	global_wb scope:SCOPE_SE
	s_wait_dscnt 0x0
	s_barrier_signal -1
	s_barrier_wait -1
	global_inv scope:SCOPE_SE
	s_and_saveexec_b32 s0, vcc_lo
	s_cbranch_execz .LBB0_26
; %bb.25:
	v_mul_lo_u32 v0, s3, v44
	v_mul_lo_u32 v1, s2, v45
	v_mad_co_u64_u32 v[4:5], null, s2, v44, 0
	v_dual_mov_b32 v43, 0 :: v_dual_add_nc_u32 v10, 0x44, v42
	v_lshl_add_u32 v20, v42, 3, v60
	v_lshlrev_b64_e32 v[8:9], 3, v[40:41]
	s_delay_alu instid0(VALU_DEP_3)
	v_dual_mov_b32 v11, v43 :: v_dual_add_nc_u32 v12, 0x88, v42
	v_add3_u32 v5, v5, v1, v0
	ds_load_2addr_b64 v[0:3], v20 offset1:68
	v_lshlrev_b64_e32 v[16:17], 3, v[42:43]
	v_mov_b32_e32 v13, v43
	v_lshlrev_b64_e32 v[10:11], 3, v[10:11]
	v_lshlrev_b64_e32 v[14:15], 3, v[4:5]
	ds_load_2addr_b64 v[4:7], v20 offset0:136 offset1:204
	v_dual_mov_b32 v19, v43 :: v_dual_add_nc_u32 v18, 0x800, v20
	v_add_co_u32 v14, vcc_lo, s6, v14
	s_wait_alu 0xfffd
	v_add_co_ci_u32_e32 v15, vcc_lo, s7, v15, vcc_lo
	s_delay_alu instid0(VALU_DEP_2) | instskip(SKIP_2) | instid1(VALU_DEP_3)
	v_add_co_u32 v24, vcc_lo, v14, v8
	v_add_nc_u32_e32 v14, 0xcc, v42
	s_wait_alu 0xfffd
	v_add_co_ci_u32_e32 v25, vcc_lo, v15, v9, vcc_lo
	v_mov_b32_e32 v15, v43
	v_lshlrev_b64_e32 v[8:9], 3, v[12:13]
	v_add_co_u32 v12, vcc_lo, v24, v16
	v_add_nc_u32_e32 v16, 0x110, v42
	s_wait_alu 0xfffd
	v_add_co_ci_u32_e32 v13, vcc_lo, v25, v17, vcc_lo
	v_add_co_u32 v10, vcc_lo, v24, v10
	v_lshlrev_b64_e32 v[14:15], 3, v[14:15]
	s_wait_alu 0xfffd
	v_add_co_ci_u32_e32 v11, vcc_lo, v25, v11, vcc_lo
	v_add_co_u32 v8, vcc_lo, v24, v8
	s_wait_alu 0xfffd
	v_add_co_ci_u32_e32 v9, vcc_lo, v25, v9, vcc_lo
	v_mov_b32_e32 v17, v43
	v_add_co_u32 v14, vcc_lo, v24, v14
	s_wait_alu 0xfffd
	v_add_co_ci_u32_e32 v15, vcc_lo, v25, v15, vcc_lo
	s_wait_dscnt 0x1
	s_clause 0x1
	global_store_b64 v[12:13], v[0:1], off
	global_store_b64 v[10:11], v[2:3], off
	s_wait_dscnt 0x0
	s_clause 0x1
	global_store_b64 v[8:9], v[4:5], off
	global_store_b64 v[14:15], v[6:7], off
	v_lshlrev_b64_e32 v[4:5], 3, v[16:17]
	v_dual_mov_b32 v7, v43 :: v_dual_add_nc_u32 v6, 0x154, v42
	ds_load_2addr_b64 v[0:3], v18 offset0:16 offset1:84
	v_dual_mov_b32 v9, v43 :: v_dual_add_nc_u32 v8, 0x198, v42
	v_add_co_u32 v10, vcc_lo, v24, v4
	s_wait_alu 0xfffd
	v_add_co_ci_u32_e32 v11, vcc_lo, v25, v5, vcc_lo
	v_lshlrev_b64_e32 v[12:13], 3, v[6:7]
	ds_load_2addr_b64 v[4:7], v18 offset0:152 offset1:220
	v_dual_mov_b32 v15, v43 :: v_dual_add_nc_u32 v14, 0x1dc, v42
	v_lshlrev_b64_e32 v[8:9], 3, v[8:9]
	v_add_nc_u32_e32 v16, 0x220, v42
	v_add_co_u32 v12, vcc_lo, v24, v12
	s_delay_alu instid0(VALU_DEP_4)
	v_lshlrev_b64_e32 v[14:15], 3, v[14:15]
	s_wait_alu 0xfffd
	v_add_co_ci_u32_e32 v13, vcc_lo, v25, v13, vcc_lo
	v_add_co_u32 v8, vcc_lo, v24, v8
	s_wait_alu 0xfffd
	v_add_co_ci_u32_e32 v9, vcc_lo, v25, v9, vcc_lo
	v_add_co_u32 v14, vcc_lo, v24, v14
	s_wait_alu 0xfffd
	v_add_co_ci_u32_e32 v15, vcc_lo, v25, v15, vcc_lo
	s_wait_dscnt 0x1
	s_clause 0x1
	global_store_b64 v[10:11], v[0:1], off
	global_store_b64 v[12:13], v[2:3], off
	s_wait_dscnt 0x0
	s_clause 0x1
	global_store_b64 v[8:9], v[4:5], off
	global_store_b64 v[14:15], v[6:7], off
	v_dual_mov_b32 v5, v43 :: v_dual_add_nc_u32 v4, 0x264, v42
	v_mov_b32_e32 v11, v43
	v_lshlrev_b64_e32 v[16:17], 3, v[16:17]
	v_dual_mov_b32 v9, v43 :: v_dual_add_nc_u32 v18, 0x1000, v20
	v_add_nc_u32_e32 v8, 0x2a8, v42
	v_lshlrev_b64_e32 v[4:5], 3, v[4:5]
	v_add_nc_u32_e32 v10, 0x2ec, v42
	v_add_co_u32 v12, vcc_lo, v24, v16
	s_delay_alu instid0(VALU_DEP_4)
	v_lshlrev_b64_e32 v[8:9], 3, v[8:9]
	s_wait_alu 0xfffd
	v_add_co_ci_u32_e32 v13, vcc_lo, v25, v17, vcc_lo
	v_add_co_u32 v14, vcc_lo, v24, v4
	v_lshlrev_b64_e32 v[16:17], 3, v[10:11]
	v_add_nc_u32_e32 v10, 0x1800, v20
	ds_load_2addr_b64 v[0:3], v18 offset0:32 offset1:100
	s_wait_alu 0xfffd
	v_add_co_ci_u32_e32 v15, vcc_lo, v25, v5, vcc_lo
	ds_load_2addr_b64 v[4:7], v18 offset0:168 offset1:236
	v_add_co_u32 v20, vcc_lo, v24, v8
	v_add_nc_u32_e32 v18, 0x330, v42
	s_wait_alu 0xfffd
	v_add_co_ci_u32_e32 v21, vcc_lo, v25, v9, vcc_lo
	ds_load_2addr_b64 v[8:11], v10 offset0:48 offset1:116
	v_add_nc_u32_e32 v42, 0x374, v42
	v_lshlrev_b64_e32 v[18:19], 3, v[18:19]
	v_add_co_u32 v16, vcc_lo, v24, v16
	s_wait_alu 0xfffd
	v_add_co_ci_u32_e32 v17, vcc_lo, v25, v17, vcc_lo
	v_lshlrev_b64_e32 v[22:23], 3, v[42:43]
	s_delay_alu instid0(VALU_DEP_4) | instskip(SKIP_2) | instid1(VALU_DEP_3)
	v_add_co_u32 v18, vcc_lo, v24, v18
	s_wait_alu 0xfffd
	v_add_co_ci_u32_e32 v19, vcc_lo, v25, v19, vcc_lo
	v_add_co_u32 v22, vcc_lo, v24, v22
	s_wait_alu 0xfffd
	v_add_co_ci_u32_e32 v23, vcc_lo, v25, v23, vcc_lo
	s_wait_dscnt 0x2
	s_clause 0x1
	global_store_b64 v[12:13], v[0:1], off
	global_store_b64 v[14:15], v[2:3], off
	s_wait_dscnt 0x1
	s_clause 0x1
	global_store_b64 v[20:21], v[4:5], off
	global_store_b64 v[16:17], v[6:7], off
	;; [unrolled: 4-line block ×3, first 2 shown]
.LBB0_26:
	s_nop 0
	s_sendmsg sendmsg(MSG_DEALLOC_VGPRS)
	s_endpgm
	.section	.rodata,"a",@progbits
	.p2align	6, 0x0
	.amdhsa_kernel fft_rtc_fwd_len952_factors_17_4_2_7_wgs_204_tpt_68_halfLds_sp_op_CI_CI_unitstride_sbrr_C2R_dirReg
		.amdhsa_group_segment_fixed_size 0
		.amdhsa_private_segment_fixed_size 0
		.amdhsa_kernarg_size 104
		.amdhsa_user_sgpr_count 2
		.amdhsa_user_sgpr_dispatch_ptr 0
		.amdhsa_user_sgpr_queue_ptr 0
		.amdhsa_user_sgpr_kernarg_segment_ptr 1
		.amdhsa_user_sgpr_dispatch_id 0
		.amdhsa_user_sgpr_private_segment_size 0
		.amdhsa_wavefront_size32 1
		.amdhsa_uses_dynamic_stack 0
		.amdhsa_enable_private_segment 0
		.amdhsa_system_sgpr_workgroup_id_x 1
		.amdhsa_system_sgpr_workgroup_id_y 0
		.amdhsa_system_sgpr_workgroup_id_z 0
		.amdhsa_system_sgpr_workgroup_info 0
		.amdhsa_system_vgpr_workitem_id 0
		.amdhsa_next_free_vgpr 209
		.amdhsa_next_free_sgpr 39
		.amdhsa_reserve_vcc 1
		.amdhsa_float_round_mode_32 0
		.amdhsa_float_round_mode_16_64 0
		.amdhsa_float_denorm_mode_32 3
		.amdhsa_float_denorm_mode_16_64 3
		.amdhsa_fp16_overflow 0
		.amdhsa_workgroup_processor_mode 1
		.amdhsa_memory_ordered 1
		.amdhsa_forward_progress 0
		.amdhsa_round_robin_scheduling 0
		.amdhsa_exception_fp_ieee_invalid_op 0
		.amdhsa_exception_fp_denorm_src 0
		.amdhsa_exception_fp_ieee_div_zero 0
		.amdhsa_exception_fp_ieee_overflow 0
		.amdhsa_exception_fp_ieee_underflow 0
		.amdhsa_exception_fp_ieee_inexact 0
		.amdhsa_exception_int_div_zero 0
	.end_amdhsa_kernel
	.text
.Lfunc_end0:
	.size	fft_rtc_fwd_len952_factors_17_4_2_7_wgs_204_tpt_68_halfLds_sp_op_CI_CI_unitstride_sbrr_C2R_dirReg, .Lfunc_end0-fft_rtc_fwd_len952_factors_17_4_2_7_wgs_204_tpt_68_halfLds_sp_op_CI_CI_unitstride_sbrr_C2R_dirReg
                                        ; -- End function
	.section	.AMDGPU.csdata,"",@progbits
; Kernel info:
; codeLenInByte = 13592
; NumSgprs: 41
; NumVgprs: 209
; ScratchSize: 0
; MemoryBound: 0
; FloatMode: 240
; IeeeMode: 1
; LDSByteSize: 0 bytes/workgroup (compile time only)
; SGPRBlocks: 5
; VGPRBlocks: 26
; NumSGPRsForWavesPerEU: 41
; NumVGPRsForWavesPerEU: 209
; Occupancy: 7
; WaveLimiterHint : 1
; COMPUTE_PGM_RSRC2:SCRATCH_EN: 0
; COMPUTE_PGM_RSRC2:USER_SGPR: 2
; COMPUTE_PGM_RSRC2:TRAP_HANDLER: 0
; COMPUTE_PGM_RSRC2:TGID_X_EN: 1
; COMPUTE_PGM_RSRC2:TGID_Y_EN: 0
; COMPUTE_PGM_RSRC2:TGID_Z_EN: 0
; COMPUTE_PGM_RSRC2:TIDIG_COMP_CNT: 0
	.text
	.p2alignl 7, 3214868480
	.fill 96, 4, 3214868480
	.type	__hip_cuid_83493c9537094a17,@object ; @__hip_cuid_83493c9537094a17
	.section	.bss,"aw",@nobits
	.globl	__hip_cuid_83493c9537094a17
__hip_cuid_83493c9537094a17:
	.byte	0                               ; 0x0
	.size	__hip_cuid_83493c9537094a17, 1

	.ident	"AMD clang version 19.0.0git (https://github.com/RadeonOpenCompute/llvm-project roc-6.4.0 25133 c7fe45cf4b819c5991fe208aaa96edf142730f1d)"
	.section	".note.GNU-stack","",@progbits
	.addrsig
	.addrsig_sym __hip_cuid_83493c9537094a17
	.amdgpu_metadata
---
amdhsa.kernels:
  - .args:
      - .actual_access:  read_only
        .address_space:  global
        .offset:         0
        .size:           8
        .value_kind:     global_buffer
      - .offset:         8
        .size:           8
        .value_kind:     by_value
      - .actual_access:  read_only
        .address_space:  global
        .offset:         16
        .size:           8
        .value_kind:     global_buffer
      - .actual_access:  read_only
        .address_space:  global
        .offset:         24
        .size:           8
        .value_kind:     global_buffer
      - .actual_access:  read_only
        .address_space:  global
        .offset:         32
        .size:           8
        .value_kind:     global_buffer
      - .offset:         40
        .size:           8
        .value_kind:     by_value
      - .actual_access:  read_only
        .address_space:  global
        .offset:         48
        .size:           8
        .value_kind:     global_buffer
      - .actual_access:  read_only
        .address_space:  global
        .offset:         56
        .size:           8
        .value_kind:     global_buffer
      - .offset:         64
        .size:           4
        .value_kind:     by_value
      - .actual_access:  read_only
        .address_space:  global
        .offset:         72
        .size:           8
        .value_kind:     global_buffer
      - .actual_access:  read_only
        .address_space:  global
        .offset:         80
        .size:           8
        .value_kind:     global_buffer
      - .actual_access:  read_only
        .address_space:  global
        .offset:         88
        .size:           8
        .value_kind:     global_buffer
      - .actual_access:  write_only
        .address_space:  global
        .offset:         96
        .size:           8
        .value_kind:     global_buffer
    .group_segment_fixed_size: 0
    .kernarg_segment_align: 8
    .kernarg_segment_size: 104
    .language:       OpenCL C
    .language_version:
      - 2
      - 0
    .max_flat_workgroup_size: 204
    .name:           fft_rtc_fwd_len952_factors_17_4_2_7_wgs_204_tpt_68_halfLds_sp_op_CI_CI_unitstride_sbrr_C2R_dirReg
    .private_segment_fixed_size: 0
    .sgpr_count:     41
    .sgpr_spill_count: 0
    .symbol:         fft_rtc_fwd_len952_factors_17_4_2_7_wgs_204_tpt_68_halfLds_sp_op_CI_CI_unitstride_sbrr_C2R_dirReg.kd
    .uniform_work_group_size: 1
    .uses_dynamic_stack: false
    .vgpr_count:     209
    .vgpr_spill_count: 0
    .wavefront_size: 32
    .workgroup_processor_mode: 1
amdhsa.target:   amdgcn-amd-amdhsa--gfx1201
amdhsa.version:
  - 1
  - 2
...

	.end_amdgpu_metadata
